;; amdgpu-corpus repo=ROCm/composable_kernel kind=compiled arch=gfx90a opt=O3
	.text
	.amdgcn_target "amdgcn-amd-amdhsa--gfx90a"
	.amdhsa_code_object_version 6
	.section	.text._ZN2ckL12flush_icacheEv,"axG",@progbits,_ZN2ckL12flush_icacheEv,comdat
	.globl	_ZN2ckL12flush_icacheEv         ; -- Begin function _ZN2ckL12flush_icacheEv
	.p2align	8
	.type	_ZN2ckL12flush_icacheEv,@function
_ZN2ckL12flush_icacheEv:                ; @_ZN2ckL12flush_icacheEv
; %bb.0:
	;;#ASMSTART
	s_icache_inv 
	s_nop 0 
	s_nop 0 
	;; [unrolled: 1-line block ×16, first 2 shown]
	
	;;#ASMEND
	s_endpgm
	.section	.rodata,"a",@progbits
	.p2align	6, 0x0
	.amdhsa_kernel _ZN2ckL12flush_icacheEv
		.amdhsa_group_segment_fixed_size 0
		.amdhsa_private_segment_fixed_size 0
		.amdhsa_kernarg_size 0
		.amdhsa_user_sgpr_count 4
		.amdhsa_user_sgpr_private_segment_buffer 1
		.amdhsa_user_sgpr_dispatch_ptr 0
		.amdhsa_user_sgpr_queue_ptr 0
		.amdhsa_user_sgpr_kernarg_segment_ptr 0
		.amdhsa_user_sgpr_dispatch_id 0
		.amdhsa_user_sgpr_flat_scratch_init 0
		.amdhsa_user_sgpr_kernarg_preload_length 0
		.amdhsa_user_sgpr_kernarg_preload_offset 0
		.amdhsa_user_sgpr_private_segment_size 0
		.amdhsa_uses_dynamic_stack 0
		.amdhsa_system_sgpr_private_segment_wavefront_offset 0
		.amdhsa_system_sgpr_workgroup_id_x 1
		.amdhsa_system_sgpr_workgroup_id_y 0
		.amdhsa_system_sgpr_workgroup_id_z 0
		.amdhsa_system_sgpr_workgroup_info 0
		.amdhsa_system_vgpr_workitem_id 0
		.amdhsa_next_free_vgpr 1
		.amdhsa_next_free_sgpr 0
		.amdhsa_accum_offset 4
		.amdhsa_reserve_vcc 0
		.amdhsa_reserve_flat_scratch 0
		.amdhsa_float_round_mode_32 0
		.amdhsa_float_round_mode_16_64 0
		.amdhsa_float_denorm_mode_32 3
		.amdhsa_float_denorm_mode_16_64 3
		.amdhsa_dx10_clamp 1
		.amdhsa_ieee_mode 1
		.amdhsa_fp16_overflow 0
		.amdhsa_tg_split 0
		.amdhsa_exception_fp_ieee_invalid_op 0
		.amdhsa_exception_fp_denorm_src 0
		.amdhsa_exception_fp_ieee_div_zero 0
		.amdhsa_exception_fp_ieee_overflow 0
		.amdhsa_exception_fp_ieee_underflow 0
		.amdhsa_exception_fp_ieee_inexact 0
		.amdhsa_exception_int_div_zero 0
	.end_amdhsa_kernel
	.section	.text._ZN2ckL12flush_icacheEv,"axG",@progbits,_ZN2ckL12flush_icacheEv,comdat
.Lfunc_end0:
	.size	_ZN2ckL12flush_icacheEv, .Lfunc_end0-_ZN2ckL12flush_icacheEv
                                        ; -- End function
	.section	.AMDGPU.csdata,"",@progbits
; Kernel info:
; codeLenInByte = 140
; NumSgprs: 4
; NumVgprs: 0
; NumAgprs: 0
; TotalNumVgprs: 0
; ScratchSize: 0
; MemoryBound: 0
; FloatMode: 240
; IeeeMode: 1
; LDSByteSize: 0 bytes/workgroup (compile time only)
; SGPRBlocks: 0
; VGPRBlocks: 0
; NumSGPRsForWavesPerEU: 4
; NumVGPRsForWavesPerEU: 1
; AccumOffset: 4
; Occupancy: 8
; WaveLimiterHint : 0
; COMPUTE_PGM_RSRC2:SCRATCH_EN: 0
; COMPUTE_PGM_RSRC2:USER_SGPR: 4
; COMPUTE_PGM_RSRC2:TRAP_HANDLER: 0
; COMPUTE_PGM_RSRC2:TGID_X_EN: 1
; COMPUTE_PGM_RSRC2:TGID_Y_EN: 0
; COMPUTE_PGM_RSRC2:TGID_Z_EN: 0
; COMPUTE_PGM_RSRC2:TIDIG_COMP_CNT: 0
; COMPUTE_PGM_RSRC3_GFX90A:ACCUM_OFFSET: 0
; COMPUTE_PGM_RSRC3_GFX90A:TG_SPLIT: 0
	.section	.text._ZN2ck27kernel_gemm_xdl_cshuffle_v3INS_28GridwiseGemm_xdl_cshuffle_v3INS_13tensor_layout4gemm8RowMajorENS3_11ColumnMajorES4_dddddNS_16tensor_operation12element_wise11PassThroughES8_S8_LNS6_6device18GemmSpecializationE0ELi128ELi64ELi64ELi64ELi4ELi4ELi16ELi16ELi2ELi4ENS_8SequenceIJLi4ELi32ELi1EEEENSB_IJLi1ELi0ELi2EEEESD_Li2ELi2ELi2ELb0ELi0ESC_SD_SD_Li2ELi2ELi2ELb0ELi0ELi1ELi2ENSB_IJLi1ELi32ELi1ELi4EEEELi2ELNS_26BlockGemmPipelineSchedulerE0ELNS_24BlockGemmPipelineVersionE2EddLb0ELb0ELb0ELi0ELb0EEELb1ELNS_25InMemoryDataOperationEnumE1ELi2ELNS_10TailNumberE10EEEvNT_8ArgumentE,"axG",@progbits,_ZN2ck27kernel_gemm_xdl_cshuffle_v3INS_28GridwiseGemm_xdl_cshuffle_v3INS_13tensor_layout4gemm8RowMajorENS3_11ColumnMajorES4_dddddNS_16tensor_operation12element_wise11PassThroughES8_S8_LNS6_6device18GemmSpecializationE0ELi128ELi64ELi64ELi64ELi4ELi4ELi16ELi16ELi2ELi4ENS_8SequenceIJLi4ELi32ELi1EEEENSB_IJLi1ELi0ELi2EEEESD_Li2ELi2ELi2ELb0ELi0ESC_SD_SD_Li2ELi2ELi2ELb0ELi0ELi1ELi2ENSB_IJLi1ELi32ELi1ELi4EEEELi2ELNS_26BlockGemmPipelineSchedulerE0ELNS_24BlockGemmPipelineVersionE2EddLb0ELb0ELb0ELi0ELb0EEELb1ELNS_25InMemoryDataOperationEnumE1ELi2ELNS_10TailNumberE10EEEvNT_8ArgumentE,comdat
	.protected	_ZN2ck27kernel_gemm_xdl_cshuffle_v3INS_28GridwiseGemm_xdl_cshuffle_v3INS_13tensor_layout4gemm8RowMajorENS3_11ColumnMajorES4_dddddNS_16tensor_operation12element_wise11PassThroughES8_S8_LNS6_6device18GemmSpecializationE0ELi128ELi64ELi64ELi64ELi4ELi4ELi16ELi16ELi2ELi4ENS_8SequenceIJLi4ELi32ELi1EEEENSB_IJLi1ELi0ELi2EEEESD_Li2ELi2ELi2ELb0ELi0ESC_SD_SD_Li2ELi2ELi2ELb0ELi0ELi1ELi2ENSB_IJLi1ELi32ELi1ELi4EEEELi2ELNS_26BlockGemmPipelineSchedulerE0ELNS_24BlockGemmPipelineVersionE2EddLb0ELb0ELb0ELi0ELb0EEELb1ELNS_25InMemoryDataOperationEnumE1ELi2ELNS_10TailNumberE10EEEvNT_8ArgumentE ; -- Begin function _ZN2ck27kernel_gemm_xdl_cshuffle_v3INS_28GridwiseGemm_xdl_cshuffle_v3INS_13tensor_layout4gemm8RowMajorENS3_11ColumnMajorES4_dddddNS_16tensor_operation12element_wise11PassThroughES8_S8_LNS6_6device18GemmSpecializationE0ELi128ELi64ELi64ELi64ELi4ELi4ELi16ELi16ELi2ELi4ENS_8SequenceIJLi4ELi32ELi1EEEENSB_IJLi1ELi0ELi2EEEESD_Li2ELi2ELi2ELb0ELi0ESC_SD_SD_Li2ELi2ELi2ELb0ELi0ELi1ELi2ENSB_IJLi1ELi32ELi1ELi4EEEELi2ELNS_26BlockGemmPipelineSchedulerE0ELNS_24BlockGemmPipelineVersionE2EddLb0ELb0ELb0ELi0ELb0EEELb1ELNS_25InMemoryDataOperationEnumE1ELi2ELNS_10TailNumberE10EEEvNT_8ArgumentE
	.globl	_ZN2ck27kernel_gemm_xdl_cshuffle_v3INS_28GridwiseGemm_xdl_cshuffle_v3INS_13tensor_layout4gemm8RowMajorENS3_11ColumnMajorES4_dddddNS_16tensor_operation12element_wise11PassThroughES8_S8_LNS6_6device18GemmSpecializationE0ELi128ELi64ELi64ELi64ELi4ELi4ELi16ELi16ELi2ELi4ENS_8SequenceIJLi4ELi32ELi1EEEENSB_IJLi1ELi0ELi2EEEESD_Li2ELi2ELi2ELb0ELi0ESC_SD_SD_Li2ELi2ELi2ELb0ELi0ELi1ELi2ENSB_IJLi1ELi32ELi1ELi4EEEELi2ELNS_26BlockGemmPipelineSchedulerE0ELNS_24BlockGemmPipelineVersionE2EddLb0ELb0ELb0ELi0ELb0EEELb1ELNS_25InMemoryDataOperationEnumE1ELi2ELNS_10TailNumberE10EEEvNT_8ArgumentE
	.p2align	8
	.type	_ZN2ck27kernel_gemm_xdl_cshuffle_v3INS_28GridwiseGemm_xdl_cshuffle_v3INS_13tensor_layout4gemm8RowMajorENS3_11ColumnMajorES4_dddddNS_16tensor_operation12element_wise11PassThroughES8_S8_LNS6_6device18GemmSpecializationE0ELi128ELi64ELi64ELi64ELi4ELi4ELi16ELi16ELi2ELi4ENS_8SequenceIJLi4ELi32ELi1EEEENSB_IJLi1ELi0ELi2EEEESD_Li2ELi2ELi2ELb0ELi0ESC_SD_SD_Li2ELi2ELi2ELb0ELi0ELi1ELi2ENSB_IJLi1ELi32ELi1ELi4EEEELi2ELNS_26BlockGemmPipelineSchedulerE0ELNS_24BlockGemmPipelineVersionE2EddLb0ELb0ELb0ELi0ELb0EEELb1ELNS_25InMemoryDataOperationEnumE1ELi2ELNS_10TailNumberE10EEEvNT_8ArgumentE,@function
_ZN2ck27kernel_gemm_xdl_cshuffle_v3INS_28GridwiseGemm_xdl_cshuffle_v3INS_13tensor_layout4gemm8RowMajorENS3_11ColumnMajorES4_dddddNS_16tensor_operation12element_wise11PassThroughES8_S8_LNS6_6device18GemmSpecializationE0ELi128ELi64ELi64ELi64ELi4ELi4ELi16ELi16ELi2ELi4ENS_8SequenceIJLi4ELi32ELi1EEEENSB_IJLi1ELi0ELi2EEEESD_Li2ELi2ELi2ELb0ELi0ESC_SD_SD_Li2ELi2ELi2ELb0ELi0ELi1ELi2ENSB_IJLi1ELi32ELi1ELi4EEEELi2ELNS_26BlockGemmPipelineSchedulerE0ELNS_24BlockGemmPipelineVersionE2EddLb0ELb0ELb0ELi0ELb0EEELb1ELNS_25InMemoryDataOperationEnumE1ELi2ELNS_10TailNumberE10EEEvNT_8ArgumentE: ; @_ZN2ck27kernel_gemm_xdl_cshuffle_v3INS_28GridwiseGemm_xdl_cshuffle_v3INS_13tensor_layout4gemm8RowMajorENS3_11ColumnMajorES4_dddddNS_16tensor_operation12element_wise11PassThroughES8_S8_LNS6_6device18GemmSpecializationE0ELi128ELi64ELi64ELi64ELi4ELi4ELi16ELi16ELi2ELi4ENS_8SequenceIJLi4ELi32ELi1EEEENSB_IJLi1ELi0ELi2EEEESD_Li2ELi2ELi2ELb0ELi0ESC_SD_SD_Li2ELi2ELi2ELb0ELi0ELi1ELi2ENSB_IJLi1ELi32ELi1ELi4EEEELi2ELNS_26BlockGemmPipelineSchedulerE0ELNS_24BlockGemmPipelineVersionE2EddLb0ELb0ELb0ELi0ELb0EEELb1ELNS_25InMemoryDataOperationEnumE1ELi2ELNS_10TailNumberE10EEEvNT_8ArgumentE
; %bb.0:
	s_mov_b64 s[30:31], s[2:3]
	s_mov_b64 s[28:29], s[0:1]
	s_add_u32 s28, s28, s8
	s_load_dwordx8 s[16:23], s[4:5], 0x10
	s_load_dword s12, s[4:5], 0x68
	s_load_dwordx2 s[8:9], s[4:5], 0x60
	s_load_dwordx4 s[0:3], s[4:5], 0x50
	s_addc_u32 s29, s29, 0
	s_waitcnt lgkmcnt(0)
	s_cmp_gt_i32 s22, 1
	s_cselect_b64 s[10:11], -1, 0
	s_bitcmp1_b32 s12, 0
	s_cselect_b64 s[14:15], -1, 0
	s_and_b64 s[10:11], s[10:11], s[14:15]
	v_mov_b32_e32 v198, v0
	s_mov_b32 s12, 0
	s_andn2_b64 vcc, exec, s[10:11]
	s_mov_b32 s10, 0
	s_cbranch_vccnz .LBB1_2
; %bb.1:
	s_mul_i32 s10, s16, s7
	s_mul_i32 s10, s10, s17
.LBB1_2:
	s_load_dword s13, s[4:5], 0x34
	s_load_dword s11, s[4:5], 0x3c
	s_add_i32 s4, s16, -1
	s_cmp_lt_u32 s4, 64
	s_cbranch_scc1 .LBB1_10
; %bb.3:
	s_add_i32 s4, s17, -1
	s_cmp_lt_u32 s4, 64
	s_mov_b32 s4, 0
	s_cbranch_scc1 .LBB1_9
; %bb.4:
	s_add_i32 s4, s16, 63
	s_ashr_i32 s5, s4, 31
	s_lshr_b32 s5, s5, 26
	s_add_i32 s4, s4, s5
	s_ashr_i32 s14, s4, 6
	s_add_i32 s4, s17, 63
	s_ashr_i32 s5, s4, 31
	s_lshr_b32 s5, s5, 26
	s_add_i32 s4, s4, s5
	s_ashr_i32 s12, s4, 6
	s_mul_i32 s4, s12, s14
	s_add_i32 s5, s4, 7
	s_ashr_i32 s15, s5, 31
	s_lshr_b32 s15, s15, 29
	s_add_i32 s5, s5, s15
	s_ashr_i32 s15, s5, 3
	s_and_b32 s5, s5, -8
	s_sub_i32 s23, s4, s5
	s_ashr_i32 s4, s6, 31
	s_lshr_b32 s4, s4, 29
	s_add_i32 s25, s6, s4
	s_and_b32 s4, s25, -8
	s_add_i32 s23, s23, 8
	s_sub_i32 s24, s6, s4
	s_cmp_gt_i32 s24, s23
	s_cbranch_scc1 .LBB1_6
; %bb.5:
	s_mul_i32 s6, s15, s24
	s_ashr_i32 s4, s25, 3
	s_cbranch_execz .LBB1_7
	s_branch .LBB1_8
.LBB1_6:
                                        ; implicit-def: $sgpr6
	s_ashr_i32 s4, s25, 3
.LBB1_7:
	s_add_i32 s5, s15, -1
	s_mul_i32 s5, s5, s24
	s_add_i32 s6, s23, s5
.LBB1_8:
	s_abs_i32 s5, s12
	v_cvt_f32_u32_e32 v0, s5
	s_sub_i32 s23, 0, s5
	s_add_i32 s4, s6, s4
	s_abs_i32 s15, s4
	v_rcp_iflag_f32_e32 v0, v0
	s_xor_b32 s6, s4, s12
	s_ashr_i32 s6, s6, 31
	v_mul_f32_e32 v0, 0x4f7ffffe, v0
	v_cvt_u32_f32_e32 v0, v0
	v_readfirstlane_b32 s24, v0
	s_mul_i32 s23, s23, s24
	s_mul_hi_u32 s23, s24, s23
	s_add_i32 s24, s24, s23
	s_mul_hi_u32 s23, s15, s24
	s_mul_i32 s24, s23, s5
	s_sub_i32 s15, s15, s24
	s_add_i32 s25, s23, 1
	s_sub_i32 s24, s15, s5
	s_cmp_ge_u32 s15, s5
	s_cselect_b32 s23, s25, s23
	s_cselect_b32 s15, s24, s15
	s_add_i32 s24, s23, 1
	s_cmp_ge_u32 s15, s5
	s_cselect_b32 s5, s24, s23
	s_xor_b32 s5, s5, s6
	s_lshr_b32 s15, s14, 30
	s_sub_i32 s5, s5, s6
	s_add_i32 s15, s14, s15
	s_mul_i32 s6, s5, s12
	s_sub_i32 s4, s4, s6
	s_and_b32 s6, s15, -4
	s_sub_i32 s14, s14, s6
	s_cmp_ge_i32 s5, s6
	s_cselect_b32 s6, s14, 4
	s_abs_i32 s15, s6
	v_cvt_f32_u32_e32 v0, s15
	s_ashr_i32 s14, s5, 31
	s_lshr_b32 s14, s14, 30
	s_add_i32 s14, s5, s14
	v_rcp_iflag_f32_e32 v0, v0
	s_and_b32 s14, s14, -4
	s_sub_i32 s14, s5, s14
	s_sub_i32 s24, 0, s15
	v_mul_f32_e32 v0, 0x4f7ffffe, v0
	v_cvt_u32_f32_e32 v0, v0
	s_mul_i32 s12, s14, s12
	s_add_i32 s12, s12, s4
	s_abs_i32 s23, s12
	v_readfirstlane_b32 s25, v0
	s_mul_i32 s24, s24, s25
	s_mul_hi_u32 s24, s25, s24
	s_add_i32 s25, s25, s24
	s_mul_hi_u32 s24, s23, s25
	s_mul_i32 s25, s24, s15
	s_xor_b32 s4, s12, s6
	s_sub_i32 s23, s23, s25
	s_ashr_i32 s4, s4, 31
	s_add_i32 s25, s24, 1
	s_sub_i32 s26, s23, s15
	s_cmp_ge_u32 s23, s15
	s_cselect_b32 s24, s25, s24
	s_cselect_b32 s23, s26, s23
	s_add_i32 s25, s24, 1
	s_cmp_ge_u32 s23, s15
	s_cselect_b32 s15, s25, s24
	s_xor_b32 s15, s15, s4
	s_sub_i32 s4, s15, s4
	s_mul_i32 s6, s4, s6
	s_sub_i32 s6, s12, s6
	s_add_i32 s6, s6, s5
	s_sub_i32 s6, s6, s14
.LBB1_9:
	s_mov_b32 s12, s6
	s_mov_b32 s6, s4
.LBB1_10:
	s_waitcnt lgkmcnt(0)
	s_mul_i32 s4, s13, s7
	s_ashr_i32 s5, s4, 31
	s_lshl_b64 s[4:5], s[4:5], 3
	s_add_u32 s0, s0, s4
	s_addc_u32 s1, s1, s5
	s_add_u32 s4, s2, s4
	s_addc_u32 s5, s3, s5
	s_add_u32 s2, 0, 0
	s_addc_u32 s2, s16, 0x1fffffff
	s_add_u32 s3, 0, 0
	s_addc_u32 s3, s17, 0x1fffffff
	s_mul_i32 s14, s3, s20
	s_add_i32 s3, s22, -1
	s_mul_i32 s15, s3, s13
	v_lshlrev_b32_e32 v0, 2, v198
	s_sub_i32 s15, s18, s15
	v_and_b32_e32 v153, 12, v0
	v_lshrrev_b32_e32 v0, 1, v198
	s_cmp_lt_u32 s7, s3
	v_and_b32_e32 v1, 62, v0
	v_and_b32_e32 v138, 14, v0
	s_cselect_b32 s7, s13, s15
	s_lshl_b32 s3, s12, 6
	s_lshl_b32 s13, s6, 6
	v_xor_b32_e32 v203, v138, v153
	v_lshlrev_b32_e32 v3, 6, v1
	v_add_u32_e32 v2, s3, v1
	v_lshl_or_b32 v139, v203, 2, v3
	v_add_u32_e32 v3, s13, v1
	v_lshlrev_b32_e32 v4, 2, v153
	v_mul_lo_u32 v2, v2, s19
	v_mul_lo_u32 v3, v3, s20
	v_add_u32_e32 v70, v2, v4
	v_add_u32_e32 v140, v3, v4
	v_and_b32_e32 v4, 63, v198
	v_and_b32_e32 v5, 48, v198
	v_sub_u32_e32 v9, v4, v5
	v_lshrrev_b32_e32 v4, 2, v198
	buffer_store_dword v4, off, s[28:31], 0 offset:792 ; 4-byte Folded Spill
	v_and_b32_e32 v4, 16, v4
	v_add_u32_e32 v141, v9, v4
	v_lshrrev_b16_e32 v4, 12, v141
	v_add_u16_e32 v4, v141, v4
	v_and_b32_e32 v4, -16, v4
	v_sub_u16_e32 v8, v141, v4
	v_lshrrev_b16_e32 v4, 11, v9
	v_and_b32_e32 v4, 15, v4
	v_add_u16_e32 v4, v9, v4
	s_ashr_i32 s3, s11, 31
	v_and_b32_e32 v4, 0xf0, v4
	s_lshr_b32 s3, s3, 28
	v_lshrrev_b32_e32 v7, 2, v5
	v_sub_u16_e32 v5, v9, v4
	s_add_i32 s11, s11, s3
	s_mul_i32 s2, s2, s19
	v_xor_b32_sdwa v6, v7, sext(v8) dst_sel:DWORD dst_unused:UNUSED_PAD src0_sel:DWORD src1_sel:WORD_0
	v_xor_b32_sdwa v4, v7, sext(v5) dst_sel:DWORD dst_unused:UNUSED_PAD src0_sel:DWORD src1_sel:BYTE_0
	s_ashr_i32 s15, s11, 4
	; sched_barrier mask(0x00000000)
	v_add_u32_e32 v62, 12, v70
	s_add_i32 s2, s7, s2
	v_add_lshl_u32 v71, v62, s19, 3
	s_lshl_b32 s2, s2, 3
	s_mov_b32 s3, 0x20000
	v_lshlrev_b32_e32 v162, 3, v70
	v_subrev_u32_e32 v18, 64, v71
	v_add_u32_e32 v30, 0xffffffb0, v71
	v_add_lshl_u32 v31, v70, s19, 3
	v_subrev_u32_e32 v50, 48, v71
	v_add_u32_e32 v72, 12, v140
	buffer_load_dwordx4 v[10:13], v162, s[0:3], 0 offen
	buffer_load_dwordx4 v[14:17], v162, s[0:3], 0 offen offset:16
	s_add_i32 s7, s7, s14
	buffer_load_dwordx4 v[18:21], v18, s[0:3], 0 offen
	s_nop 0
	buffer_load_dwordx4 v[22:25], v31, s[0:3], 0 offen
	buffer_load_dwordx4 v[26:29], v30, s[0:3], 0 offen
	s_nop 0
	buffer_load_dwordx4 v[30:33], v50, s[0:3], 0 offen
	buffer_load_dwordx4 v[34:37], v162, s[0:3], 0 offen offset:48
	buffer_load_dwordx4 v[38:41], v162, s[0:3], 0 offen offset:32
	;; [unrolled: 1-line block ×4, first 2 shown]
	v_subrev_u32_e32 v50, 32, v71
	v_add_u32_e32 v63, -16, v71
	v_lshlrev_b32_e32 v73, 3, v62
	v_or_b32_e32 v145, 1, v138
	v_or_b32_e32 v74, 1, v153
	v_add_u32_e32 v146, 0x4c, v70
	v_add_lshl_u32 v130, v72, s20, 3
	buffer_load_dwordx4 v[50:53], v50, s[0:3], 0 offen
	v_lshlrev_b32_e32 v163, 3, v140
	v_add_lshl_u32 v102, v140, s20, 3
	buffer_load_dwordx4 v[54:57], v71, s[0:3], 0 offen offset:16
	buffer_load_dwordx4 v[58:61], v63, s[0:3], 0 offen
	s_nop 0
	buffer_load_dwordx4 v[62:65], v73, s[0:3], 0 offen
	buffer_load_dwordx4 v[66:69], v71, s[0:3], 0 offen
	s_lshl_b32 s6, s7, 3
	s_mov_b32 s7, s3
	v_lshlrev_b32_e32 v122, 3, v72
	v_xor_b32_e32 v131, v145, v153
	v_xor_b32_e32 v148, v145, v74
	buffer_load_dwordx4 v[70:73], v162, s[0:3], 0 offen offset:112
	v_lshlrev_b32_e32 v150, 3, v146
	buffer_store_dword v74, off, s[28:31], 0 offset:668 ; 4-byte Folded Spill
	v_subrev_u32_e32 v90, 48, v130
	v_add_u32_e32 v91, 0xffffffb0, v130
	v_subrev_u32_e32 v103, 32, v130
	v_subrev_u32_e32 v104, 64, v130
	v_add_u32_e32 v134, -16, v130
	v_xor_b32_e32 v149, v74, v138
	buffer_load_dwordx4 v[74:77], v163, s[4:7], 0 offen
	buffer_load_dwordx4 v[78:81], v163, s[4:7], 0 offen offset:16
	buffer_load_dwordx4 v[82:85], v90, s[4:7], 0 offen
	buffer_load_dwordx4 v[86:89], v91, s[4:7], 0 offen
	s_nop 0
	buffer_load_dwordx4 v[90:93], v102, s[4:7], 0 offen
	buffer_load_dwordx4 v[94:97], v103, s[4:7], 0 offen
	;; [unrolled: 1-line block ×3, first 2 shown]
                                        ; kill: killed $vgpr102
                                        ; kill: killed $vgpr104
                                        ; kill: killed $vgpr103
	s_nop 0
	buffer_load_dwordx4 v[102:105], v163, s[4:7], 0 offen offset:32
	buffer_load_dwordx4 v[106:109], v163, s[4:7], 0 offen offset:48
	;; [unrolled: 1-line block ×5, first 2 shown]
	s_nop 0
	buffer_load_dwordx4 v[122:125], v122, s[4:7], 0 offen
	s_nop 0
	buffer_load_dwordx4 v[126:129], v130, s[4:7], 0 offen
	v_sub_u32_e32 v151, v131, v203
	v_sub_u32_e32 v152, v148, v131
	buffer_load_dwordx4 v[130:133], v130, s[4:7], 0 offen offset:16
	s_nop 0
	buffer_load_dwordx4 v[134:137], v134, s[4:7], 0 offen
	v_lshlrev_b32_e32 v144, 3, v139
	buffer_load_dwordx4 v[154:157], v150, s[0:3], 0 offen
	v_or_b32_e32 v147, 16, v144
	v_lshlrev_b32_e32 v150, 5, v151
	v_lshl_add_u32 v139, v151, 2, v139
	v_lshlrev_b32_e32 v151, 5, v152
	v_add_u32_e32 v147, v147, v150
	v_sub_u32_e32 v148, v149, v148
	v_lshl_add_u32 v139, v152, 2, v139
	v_add_u32_e32 v152, v147, v151
	v_lshl_add_u32 v139, v148, 2, v139
                                        ; kill: killed $vgpr162
                                        ; kill: killed $vgpr163
	s_mov_b32 s11, 0x8010
	s_mov_b32 s14, 0x8000
	s_waitcnt vmcnt(0)
	buffer_store_dword v154, off, s[28:31], 0 offset:292 ; 4-byte Folded Spill
	s_nop 0
	buffer_store_dword v155, off, s[28:31], 0 offset:296 ; 4-byte Folded Spill
	buffer_store_dword v156, off, s[28:31], 0 offset:300 ; 4-byte Folded Spill
	;; [unrolled: 1-line block ×3, first 2 shown]
	ds_write_b128 v144, v[10:13]
	ds_write_b128 v144, v[14:17] offset:16
	ds_write_b128 v147, v[22:25] offset:496
	;; [unrolled: 1-line block ×5, first 2 shown]
	v_or_b32_e32 v16, 2, v153
	v_lshlrev_b32_e32 v10, 5, v148
	v_xor_b32_e32 v13, v16, v138
	v_add_u32_e32 v11, v152, v10
	v_sub_u32_e32 v14, v13, v149
	v_add_u32_e32 v12, -16, v11
	v_lshlrev_b32_e32 v15, 5, v14
	ds_write_b128 v12, v[38:41]
	v_add_u32_e32 v12, v12, v15
	v_or_b32_e32 v19, 3, v153
	ds_write_b128 v11, v[34:37]
	ds_write_b128 v12, v[42:45]
	v_lshl_add_u32 v12, v14, 2, v139
	v_xor_b32_e32 v14, v16, v145
	v_xor_b32_e32 v17, v145, v19
	v_sub_u32_e32 v13, v14, v13
	v_sub_u32_e32 v14, v17, v14
	v_add_u32_e32 v11, v11, v15
	buffer_store_dword v16, off, s[28:31], 0 offset:672 ; 4-byte Folded Spill
	v_lshlrev_b32_e32 v16, 2, v13
	v_lshlrev_b32_e32 v18, 2, v14
	;; [unrolled: 1-line block ×3, first 2 shown]
	ds_write_b128 v11, v[46:49]
	v_add3_u32 v12, v16, v12, v18
	v_add_u32_e32 v11, v11, v13
	v_lshlrev_b32_e32 v14, 5, v14
	v_xor_b32_e32 v16, v19, v138
	buffer_store_dword v153, off, s[28:31], 0 offset:272 ; 4-byte Folded Spill
	ds_write_b128 v11, v[58:61] offset:512
	ds_write_b128 v11, v[50:53] offset:496
	v_add_u32_e32 v11, v11, v14
	v_sub_u32_e32 v17, v16, v17
	v_sub_u32_e32 v16, v203, v16
	ds_write_b128 v11, v[66:69] offset:496
	ds_write_b128 v11, v[54:57] offset:512
	buffer_store_dword v19, off, s[28:31], 0 offset:676 ; 4-byte Folded Spill
	v_lshlrev_b32_e32 v18, 2, v17
	v_lshlrev_b32_e32 v16, 2, v16
	v_add3_u32 v199, v12, v18, v16
	v_lshlrev_b32_e32 v12, 5, v17
	buffer_load_dwordx4 v[16:19], v162, s[0:3], 0 offen offset:512
	v_add_u32_e32 v11, v11, v12
	s_waitcnt vmcnt(0)
	buffer_store_dword v16, off, s[28:31], 0 offset:580 ; 4-byte Folded Spill
	s_nop 0
	buffer_store_dword v17, off, s[28:31], 0 offset:584 ; 4-byte Folded Spill
	buffer_store_dword v18, off, s[28:31], 0 offset:588 ; 4-byte Folded Spill
	;; [unrolled: 1-line block ×3, first 2 shown]
	ds_write_b128 v11, v[70:73]
	v_add_u32_e32 v11, -16, v11
	v_add_u32_e32 v16, 0x4c, v140
	ds_write_b128 v11, v[62:65]
	ds_write_b128 v144, v[74:77] offset:32768
	v_lshlrev_b32_e32 v17, 3, v16
	buffer_load_dwordx4 v[18:21], v17, s[4:7], 0 offen
	v_or_b32_e32 v11, 0x8010, v144
	v_add_u32_e32 v11, v11, v150
	ds_write_b128 v144, v[78:81] offset:32784
	ds_write_b128 v11, v[86:89] offset:512
	s_waitcnt vmcnt(0)
	buffer_store_dword v18, off, s[28:31], 0 offset:548 ; 4-byte Folded Spill
	s_nop 0
	buffer_store_dword v19, off, s[28:31], 0 offset:552 ; 4-byte Folded Spill
	buffer_store_dword v20, off, s[28:31], 0 offset:556 ; 4-byte Folded Spill
	;; [unrolled: 1-line block ×3, first 2 shown]
	ds_write_b128 v11, v[90:93] offset:496
	v_add_u32_e32 v11, v11, v151
	v_add_u32_e32 v10, v11, v10
	ds_write_b128 v11, v[98:101] offset:496
	ds_write_b128 v11, v[82:85] offset:512
	v_add_u32_e32 v11, -16, v10
	ds_write_b128 v10, v[106:109]
	ds_write_b128 v11, v[102:105]
	v_add_u32_e32 v11, v11, v15
	v_add_u32_e32 v10, v10, v15
	ds_write_b128 v11, v[158:161]
	ds_write_b128 v10, v[114:117]
	v_add_u32_e32 v10, v10, v13
	ds_write_b128 v10, v[134:137] offset:512
	ds_write_b128 v10, v[94:97] offset:496
	v_add_u32_e32 v10, v10, v14
	ds_write_b128 v10, v[126:129] offset:496
	ds_write_b128 v10, v[130:133] offset:512
	v_add_u32_e32 v10, v10, v12
	buffer_load_dwordx4 v[12:15], v163, s[4:7], 0 offen offset:512
	s_waitcnt vmcnt(0)
	buffer_store_dword v12, off, s[28:31], 0 offset:276 ; 4-byte Folded Spill
	s_nop 0
	buffer_store_dword v13, off, s[28:31], 0 offset:280 ; 4-byte Folded Spill
	buffer_store_dword v14, off, s[28:31], 0 offset:284 ; 4-byte Folded Spill
	;; [unrolled: 1-line block ×3, first 2 shown]
	ds_write_b128 v10, v[110:113]
	v_add_u32_e32 v10, -16, v10
	ds_write_b128 v10, v[122:125]
	buffer_load_dwordx4 v[142:145], v162, s[0:3], 0 offen offset:528
	buffer_load_dwordx4 v[10:13], v162, s[0:3], 0 offen offset:544
	s_waitcnt vmcnt(0)
	buffer_store_dword v10, off, s[28:31], 0 offset:388 ; 4-byte Folded Spill
	s_nop 0
	buffer_store_dword v11, off, s[28:31], 0 offset:392 ; 4-byte Folded Spill
	buffer_store_dword v12, off, s[28:31], 0 offset:396 ; 4-byte Folded Spill
	buffer_store_dword v13, off, s[28:31], 0 offset:400 ; 4-byte Folded Spill
	buffer_load_dwordx4 v[10:13], v162, s[0:3], 0 offen offset:560
	s_waitcnt vmcnt(0)
	buffer_store_dword v10, off, s[28:31], 0 offset:404 ; 4-byte Folded Spill
	s_nop 0
	buffer_store_dword v11, off, s[28:31], 0 offset:408 ; 4-byte Folded Spill
	buffer_store_dword v12, off, s[28:31], 0 offset:412 ; 4-byte Folded Spill
	buffer_store_dword v13, off, s[28:31], 0 offset:416 ; 4-byte Folded Spill
	;; [unrolled: 7-line block ×5, first 2 shown]
	v_add_lshl_u32 v10, v146, s19, 3
	buffer_load_dwordx4 v[12:15], v10, s[0:3], 0 offen
	s_waitcnt vmcnt(0)
	buffer_store_dword v12, off, s[28:31], 0 offset:452 ; 4-byte Folded Spill
	s_nop 0
	buffer_store_dword v13, off, s[28:31], 0 offset:456 ; 4-byte Folded Spill
	buffer_store_dword v14, off, s[28:31], 0 offset:460 ; 4-byte Folded Spill
	;; [unrolled: 1-line block ×3, first 2 shown]
	buffer_load_dwordx4 v[12:15], v10, s[0:3], 0 offen offset:16
	s_waitcnt vmcnt(0)
	buffer_store_dword v12, off, s[28:31], 0 offset:468 ; 4-byte Folded Spill
	s_nop 0
	buffer_store_dword v13, off, s[28:31], 0 offset:472 ; 4-byte Folded Spill
	buffer_store_dword v14, off, s[28:31], 0 offset:476 ; 4-byte Folded Spill
	;; [unrolled: 1-line block ×3, first 2 shown]
	v_add_u32_e32 v11, -16, v10
	buffer_load_dwordx4 v[18:21], v11, s[0:3], 0 offen
	v_subrev_u32_e32 v12, 32, v10
	s_waitcnt vmcnt(0)
	buffer_store_dword v18, off, s[28:31], 0 offset:500 ; 4-byte Folded Spill
	s_nop 0
	buffer_store_dword v19, off, s[28:31], 0 offset:504 ; 4-byte Folded Spill
	buffer_store_dword v20, off, s[28:31], 0 offset:508 ; 4-byte Folded Spill
	;; [unrolled: 1-line block ×3, first 2 shown]
	buffer_load_dwordx4 v[18:21], v12, s[0:3], 0 offen
	s_waitcnt vmcnt(0)
	buffer_store_dword v18, off, s[28:31], 0 offset:484 ; 4-byte Folded Spill
	s_nop 0
	buffer_store_dword v19, off, s[28:31], 0 offset:488 ; 4-byte Folded Spill
	buffer_store_dword v20, off, s[28:31], 0 offset:492 ; 4-byte Folded Spill
	;; [unrolled: 1-line block ×3, first 2 shown]
                                        ; kill: killed $vgpr11
	v_subrev_u32_e32 v11, 64, v10
	buffer_load_dwordx4 v[18:21], v11, s[0:3], 0 offen
                                        ; kill: killed $vgpr12
	v_subrev_u32_e32 v12, 48, v10
	s_waitcnt vmcnt(0)
	buffer_store_dword v18, off, s[28:31], 0 offset:532 ; 4-byte Folded Spill
	s_nop 0
	buffer_store_dword v19, off, s[28:31], 0 offset:536 ; 4-byte Folded Spill
	buffer_store_dword v20, off, s[28:31], 0 offset:540 ; 4-byte Folded Spill
	;; [unrolled: 1-line block ×3, first 2 shown]
                                        ; kill: killed $vgpr11
	v_add_u32_e32 v11, 0xffffffb0, v10
	buffer_load_dwordx4 v[234:237], v12, s[0:3], 0 offen
                                        ; kill: killed $vgpr12
	v_add_u32_e32 v10, 0xffffffa0, v10
	buffer_load_dwordx4 v[206:209], v11, s[0:3], 0 offen
	buffer_load_dwordx4 v[80:83], v10, s[0:3], 0 offen
	buffer_load_dwordx4 v[12:15], v163, s[4:7], 0 offen offset:528
	s_waitcnt vmcnt(0)
	buffer_store_dword v12, off, s[28:31], 0 offset:324 ; 4-byte Folded Spill
	s_nop 0
	buffer_store_dword v13, off, s[28:31], 0 offset:328 ; 4-byte Folded Spill
	buffer_store_dword v14, off, s[28:31], 0 offset:332 ; 4-byte Folded Spill
	buffer_store_dword v15, off, s[28:31], 0 offset:336 ; 4-byte Folded Spill
	buffer_load_dwordx4 v[12:15], v163, s[4:7], 0 offen offset:544
	s_waitcnt vmcnt(0)
	buffer_store_dword v12, off, s[28:31], 0 offset:308 ; 4-byte Folded Spill
	s_nop 0
	buffer_store_dword v13, off, s[28:31], 0 offset:312 ; 4-byte Folded Spill
	buffer_store_dword v14, off, s[28:31], 0 offset:316 ; 4-byte Folded Spill
	buffer_store_dword v15, off, s[28:31], 0 offset:320 ; 4-byte Folded Spill
	;; [unrolled: 7-line block ×6, first 2 shown]
                                        ; kill: killed $vgpr10
	v_add_lshl_u32 v10, v16, s20, 3
	buffer_load_dwordx4 v[12:15], v10, s[4:7], 0 offen
	s_waitcnt vmcnt(0)
	buffer_store_dword v12, off, s[28:31], 0 offset:564 ; 4-byte Folded Spill
	s_nop 0
	buffer_store_dword v13, off, s[28:31], 0 offset:568 ; 4-byte Folded Spill
	buffer_store_dword v14, off, s[28:31], 0 offset:572 ; 4-byte Folded Spill
	;; [unrolled: 1-line block ×3, first 2 shown]
	buffer_load_dwordx4 v[12:15], v10, s[4:7], 0 offen offset:16
                                        ; kill: killed $vgpr11
	s_waitcnt vmcnt(0)
	buffer_store_dword v12, off, s[28:31], 0 offset:612 ; 4-byte Folded Spill
	s_nop 0
	buffer_store_dword v13, off, s[28:31], 0 offset:616 ; 4-byte Folded Spill
	buffer_store_dword v14, off, s[28:31], 0 offset:620 ; 4-byte Folded Spill
	;; [unrolled: 1-line block ×3, first 2 shown]
	v_add_u32_e32 v11, -16, v10
	buffer_load_dwordx4 v[14:17], v11, s[4:7], 0 offen
	v_subrev_u32_e32 v12, 32, v10
	s_waitcnt vmcnt(0)
	buffer_store_dword v14, off, s[28:31], 0 offset:628 ; 4-byte Folded Spill
	s_nop 0
	buffer_store_dword v15, off, s[28:31], 0 offset:632 ; 4-byte Folded Spill
	buffer_store_dword v16, off, s[28:31], 0 offset:636 ; 4-byte Folded Spill
	buffer_store_dword v17, off, s[28:31], 0 offset:640 ; 4-byte Folded Spill
	v_subrev_u32_e32 v11, 64, v10
	buffer_load_dwordx4 v[224:227], v12, s[4:7], 0 offen
	v_subrev_u32_e32 v12, 48, v10
	buffer_load_dwordx4 v[92:95], v11, s[4:7], 0 offen
	buffer_load_dwordx4 v[100:103], v12, s[4:7], 0 offen
	v_add_u32_e32 v11, 0xffffffb0, v10
	v_add_u32_e32 v10, 0xffffffa0, v10
	buffer_load_dwordx4 v[96:99], v11, s[4:7], 0 offen
	buffer_load_dwordx4 v[210:213], v10, s[4:7], 0 offen
	v_add_u16_e32 v10, 32, v141
	v_ashrrev_i16_e32 v12, 15, v10
	v_add_u16_e32 v14, 16, v9
	v_mov_b32_e32 v15, 11
	v_lshrrev_b16_e32 v12, 12, v12
	v_lshrrev_b16_sdwa v16, v15, sext(v14) dst_sel:DWORD dst_unused:UNUSED_PAD src0_sel:DWORD src1_sel:BYTE_0
	v_add_u16_e32 v12, v10, v12
	v_and_b32_e32 v16, 15, v16
	v_and_b32_e32 v12, -16, v12
	v_add_u16_e32 v16, v14, v16
	v_sub_u16_e32 v12, v10, v12
	v_and_b32_e32 v16, 0xf0, v16
	v_xor_b32_sdwa v10, v7, sext(v12) dst_sel:DWORD dst_unused:UNUSED_PAD src0_sel:DWORD src1_sel:WORD_0
	v_sub_u16_e32 v14, v14, v16
	v_lshlrev_b32_e32 v11, 9, v141
	v_sub_u32_e32 v10, v10, v6
	v_lshlrev_b32_e32 v13, 9, v9
	v_xor_b32_sdwa v16, v7, sext(v14) dst_sel:DWORD dst_unused:UNUSED_PAD src0_sel:DWORD src1_sel:BYTE_0
	v_lshl_add_u32 v18, v6, 5, v11
	v_lshlrev_b32_e32 v10, 5, v10
	v_lshl_add_u32 v20, v4, 5, v13
	v_sub_u32_e32 v16, v16, v4
	v_add_u32_e32 v19, v18, v10
	v_add_u32_e32 v10, 0x8000, v20
	v_lshlrev_b32_e32 v16, 5, v16
	s_waitcnt lgkmcnt(0)
	s_barrier
	buffer_store_dword v16, off, s[28:31], 0 offset:688 ; 4-byte Folded Spill
	v_add_u32_e32 v16, v10, v16
	ds_read_b128 v[22:25], v16 offset:8192
	v_add_u16_e32 v9, 32, v9
	v_lshrrev_b16_sdwa v15, v15, sext(v9) dst_sel:DWORD dst_unused:UNUSED_PAD src0_sel:DWORD src1_sel:BYTE_0
	v_and_b32_e32 v15, 15, v15
	s_waitcnt lgkmcnt(0)
	buffer_store_dword v22, off, s[28:31], 0 offset:16 ; 4-byte Folded Spill
	s_nop 0
	buffer_store_dword v23, off, s[28:31], 0 offset:20 ; 4-byte Folded Spill
	buffer_store_dword v24, off, s[28:31], 0 offset:24 ; 4-byte Folded Spill
	;; [unrolled: 1-line block ×3, first 2 shown]
	v_add_u16_e32 v15, v9, v15
	ds_read_b128 v[22:25], v16 offset:8208
	v_and_b32_e32 v15, 0xf0, v15
	v_sub_u16_e32 v9, v9, v15
	v_xor_b32_sdwa v15, v7, sext(v9) dst_sel:DWORD dst_unused:UNUSED_PAD src0_sel:DWORD src1_sel:BYTE_0
	v_sub_u32_e32 v15, v15, v4
	v_lshlrev_b32_e32 v15, 5, v15
	s_waitcnt lgkmcnt(0)
	buffer_store_dword v22, off, s[28:31], 0 ; 4-byte Folded Spill
	s_nop 0
	buffer_store_dword v23, off, s[28:31], 0 offset:4 ; 4-byte Folded Spill
	buffer_store_dword v24, off, s[28:31], 0 offset:8 ; 4-byte Folded Spill
	;; [unrolled: 1-line block ×4, first 2 shown]
	v_add_u32_e32 v15, v10, v15
	ds_read_b128 v[22:25], v15 offset:16384
	s_waitcnt lgkmcnt(0)
	buffer_store_dword v22, off, s[28:31], 0 offset:96 ; 4-byte Folded Spill
	s_nop 0
	buffer_store_dword v23, off, s[28:31], 0 offset:100 ; 4-byte Folded Spill
	buffer_store_dword v24, off, s[28:31], 0 offset:104 ; 4-byte Folded Spill
	;; [unrolled: 1-line block ×3, first 2 shown]
	ds_read_b128 v[22:25], v15 offset:16400
	v_and_b32_e32 v17, 15, v198
	v_xor_b32_e32 v15, v7, v17
	v_sub_u32_e32 v15, v15, v4
	v_lshlrev_b32_e32 v15, 5, v15
	s_waitcnt lgkmcnt(0)
	buffer_store_dword v22, off, s[28:31], 0 offset:32 ; 4-byte Folded Spill
	s_nop 0
	buffer_store_dword v23, off, s[28:31], 0 offset:36 ; 4-byte Folded Spill
	buffer_store_dword v24, off, s[28:31], 0 offset:40 ; 4-byte Folded Spill
	;; [unrolled: 1-line block ×4, first 2 shown]
	v_add_u32_e32 v15, v10, v15
	ds_read_b128 v[122:125], v15 offset:24576
	ds_read_b128 v[108:111], v15 offset:24592
	v_or_b32_e32 v15, 1, v7
	v_xor_b32_sdwa v16, v15, sext(v8) dst_sel:DWORD dst_unused:UNUSED_PAD src0_sel:DWORD src1_sel:WORD_0
	v_lshl_add_u32 v22, v16, 5, v11
	v_xor_b32_sdwa v16, v15, sext(v12) dst_sel:DWORD dst_unused:UNUSED_PAD src0_sel:DWORD src1_sel:WORD_0
	v_sub_u32_e32 v16, v16, v6
	v_lshlrev_b32_e32 v16, 5, v16
	v_add_u32_e32 v23, v18, v16
	v_xor_b32_sdwa v16, v15, sext(v5) dst_sel:DWORD dst_unused:UNUSED_PAD src0_sel:DWORD src1_sel:BYTE_0
	v_lshl_add_u32 v21, v16, 5, v13
	v_xor_b32_sdwa v16, v15, sext(v14) dst_sel:DWORD dst_unused:UNUSED_PAD src0_sel:DWORD src1_sel:BYTE_0
	v_sub_u32_e32 v16, v16, v4
	v_lshlrev_b32_e32 v16, 5, v16
	buffer_store_dword v16, off, s[28:31], 0 offset:716 ; 4-byte Folded Spill
	v_add_u32_e32 v16, v10, v16
	ds_read_b128 v[24:27], v16 offset:8192
	s_waitcnt lgkmcnt(0)
	buffer_store_dword v24, off, s[28:31], 0 offset:192 ; 4-byte Folded Spill
	s_nop 0
	buffer_store_dword v25, off, s[28:31], 0 offset:196 ; 4-byte Folded Spill
	buffer_store_dword v26, off, s[28:31], 0 offset:200 ; 4-byte Folded Spill
	buffer_store_dword v27, off, s[28:31], 0 offset:204 ; 4-byte Folded Spill
	ds_read_b128 v[24:27], v16 offset:8208
	v_xor_b32_sdwa v16, v15, sext(v9) dst_sel:DWORD dst_unused:UNUSED_PAD src0_sel:DWORD src1_sel:BYTE_0
	v_sub_u32_e32 v16, v16, v4
	v_lshlrev_b32_e32 v16, 5, v16
	s_waitcnt lgkmcnt(0)
	buffer_store_dword v24, off, s[28:31], 0 offset:176 ; 4-byte Folded Spill
	s_nop 0
	buffer_store_dword v25, off, s[28:31], 0 offset:180 ; 4-byte Folded Spill
	buffer_store_dword v26, off, s[28:31], 0 offset:184 ; 4-byte Folded Spill
	;; [unrolled: 1-line block ×4, first 2 shown]
	v_add_u32_e32 v16, v10, v16
	ds_read_b128 v[24:27], v16 offset:16384
	s_waitcnt lgkmcnt(0)
	buffer_store_dword v24, off, s[28:31], 0 offset:160 ; 4-byte Folded Spill
	s_nop 0
	buffer_store_dword v25, off, s[28:31], 0 offset:164 ; 4-byte Folded Spill
	buffer_store_dword v26, off, s[28:31], 0 offset:168 ; 4-byte Folded Spill
	;; [unrolled: 1-line block ×3, first 2 shown]
	ds_read_b128 v[24:27], v16 offset:16400
	v_xor_b32_e32 v15, v15, v17
	v_sub_u32_e32 v15, v15, v4
	v_lshlrev_b32_e32 v15, 5, v15
	s_waitcnt lgkmcnt(0)
	buffer_store_dword v24, off, s[28:31], 0 offset:128 ; 4-byte Folded Spill
	s_nop 0
	buffer_store_dword v25, off, s[28:31], 0 offset:132 ; 4-byte Folded Spill
	buffer_store_dword v26, off, s[28:31], 0 offset:136 ; 4-byte Folded Spill
	;; [unrolled: 1-line block ×4, first 2 shown]
	v_add_u32_e32 v15, v10, v15
	ds_read_b128 v[24:27], v15 offset:24576
	s_waitcnt lgkmcnt(0)
	buffer_store_dword v24, off, s[28:31], 0 offset:144 ; 4-byte Folded Spill
	s_nop 0
	buffer_store_dword v25, off, s[28:31], 0 offset:148 ; 4-byte Folded Spill
	buffer_store_dword v26, off, s[28:31], 0 offset:152 ; 4-byte Folded Spill
	;; [unrolled: 1-line block ×3, first 2 shown]
	ds_read_b128 v[24:27], v15 offset:24592
	v_or_b32_e32 v15, 2, v7
	s_waitcnt lgkmcnt(0)
	buffer_store_dword v24, off, s[28:31], 0 offset:112 ; 4-byte Folded Spill
	s_nop 0
	buffer_store_dword v25, off, s[28:31], 0 offset:116 ; 4-byte Folded Spill
	buffer_store_dword v26, off, s[28:31], 0 offset:120 ; 4-byte Folded Spill
	;; [unrolled: 1-line block ×3, first 2 shown]
	v_xor_b32_sdwa v16, v15, sext(v8) dst_sel:DWORD dst_unused:UNUSED_PAD src0_sel:DWORD src1_sel:WORD_0
	v_lshl_add_u32 v24, v16, 5, v11
	v_xor_b32_sdwa v16, v15, sext(v12) dst_sel:DWORD dst_unused:UNUSED_PAD src0_sel:DWORD src1_sel:WORD_0
	v_sub_u32_e32 v16, v16, v6
	v_lshlrev_b32_e32 v16, 5, v16
	v_add_u32_e32 v25, v18, v16
	v_xor_b32_sdwa v16, v15, sext(v5) dst_sel:DWORD dst_unused:UNUSED_PAD src0_sel:DWORD src1_sel:BYTE_0
	v_lshl_add_u32 v26, v16, 5, v13
	v_xor_b32_sdwa v16, v15, sext(v14) dst_sel:DWORD dst_unused:UNUSED_PAD src0_sel:DWORD src1_sel:BYTE_0
	v_sub_u32_e32 v16, v16, v4
	v_lshlrev_b32_e32 v16, 5, v16
	buffer_store_dword v16, off, s[28:31], 0 offset:736 ; 4-byte Folded Spill
	v_add_u32_e32 v16, v10, v16
	ds_read_b128 v[28:31], v16 offset:8192
	s_waitcnt lgkmcnt(0)
	buffer_store_dword v28, off, s[28:31], 0 offset:80 ; 4-byte Folded Spill
	s_nop 0
	buffer_store_dword v29, off, s[28:31], 0 offset:84 ; 4-byte Folded Spill
	buffer_store_dword v30, off, s[28:31], 0 offset:88 ; 4-byte Folded Spill
	;; [unrolled: 1-line block ×3, first 2 shown]
	ds_read_b128 v[28:31], v16 offset:8208
	v_xor_b32_sdwa v16, v15, sext(v9) dst_sel:DWORD dst_unused:UNUSED_PAD src0_sel:DWORD src1_sel:BYTE_0
	v_sub_u32_e32 v16, v16, v4
	v_lshlrev_b32_e32 v16, 5, v16
	s_waitcnt lgkmcnt(0)
	buffer_store_dword v28, off, s[28:31], 0 offset:48 ; 4-byte Folded Spill
	s_nop 0
	buffer_store_dword v29, off, s[28:31], 0 offset:52 ; 4-byte Folded Spill
	buffer_store_dword v30, off, s[28:31], 0 offset:56 ; 4-byte Folded Spill
	;; [unrolled: 1-line block ×4, first 2 shown]
	v_add_u32_e32 v16, v10, v16
	ds_read_b128 v[28:31], v16 offset:16384
	v_or_b32_e32 v7, 3, v7
	v_xor_b32_sdwa v8, v7, sext(v8) dst_sel:DWORD dst_unused:UNUSED_PAD src0_sel:DWORD src1_sel:WORD_0
	v_xor_b32_e32 v15, v15, v17
	v_lshl_add_u32 v11, v8, 5, v11
	v_xor_b32_sdwa v8, v7, sext(v12) dst_sel:DWORD dst_unused:UNUSED_PAD src0_sel:DWORD src1_sel:WORD_0
	v_xor_b32_sdwa v5, v7, sext(v5) dst_sel:DWORD dst_unused:UNUSED_PAD src0_sel:DWORD src1_sel:BYTE_0
	v_sub_u32_e32 v15, v15, v4
	v_sub_u32_e32 v6, v8, v6
	v_lshl_add_u32 v8, v5, 5, v13
	v_xor_b32_sdwa v5, v7, sext(v14) dst_sel:DWORD dst_unused:UNUSED_PAD src0_sel:DWORD src1_sel:BYTE_0
	v_lshlrev_b32_e32 v15, 5, v15
	v_sub_u32_e32 v5, v5, v4
	s_waitcnt lgkmcnt(0)
	buffer_store_dword v28, off, s[28:31], 0 offset:64 ; 4-byte Folded Spill
	s_nop 0
	buffer_store_dword v29, off, s[28:31], 0 offset:68 ; 4-byte Folded Spill
	buffer_store_dword v30, off, s[28:31], 0 offset:72 ; 4-byte Folded Spill
	;; [unrolled: 1-line block ×4, first 2 shown]
	v_add_u32_e32 v15, v10, v15
	v_lshlrev_b32_e32 v5, 5, v5
	ds_read_b128 v[158:161], v16 offset:16400
	ds_read_b128 v[162:165], v15 offset:24576
	;; [unrolled: 1-line block ×3, first 2 shown]
	buffer_store_dword v5, off, s[28:31], 0 offset:760 ; 4-byte Folded Spill
	v_add_u32_e32 v5, v10, v5
	ds_read_b128 v[138:141], v5 offset:8192
	ds_read_b128 v[134:137], v5 offset:8208
	v_xor_b32_sdwa v5, v7, sext(v9) dst_sel:DWORD dst_unused:UNUSED_PAD src0_sel:DWORD src1_sel:BYTE_0
	v_sub_u32_e32 v5, v5, v4
	v_lshlrev_b32_e32 v5, 5, v5
	buffer_store_dword v5, off, s[28:31], 0 offset:764 ; 4-byte Folded Spill
	v_add_u32_e32 v5, v10, v5
	ds_read_b128 v[186:189], v5 offset:16384
	ds_read_b128 v[126:129], v5 offset:16400
	v_xor_b32_e32 v5, v7, v17
	v_sub_u32_e32 v4, v5, v4
	v_lshlrev_b32_e32 v4, 5, v4
	buffer_store_dword v17, off, s[28:31], 0 offset:796 ; 4-byte Folded Spill
	buffer_store_dword v4, off, s[28:31], 0 offset:768 ; 4-byte Folded Spill
	v_add_u32_e32 v4, v10, v4
	ds_read_b128 v[182:185], v4 offset:24576
	ds_read_b128 v[130:133], v4 offset:24592
	ds_read_b128 v[74:77], v18
	buffer_store_dword v18, off, s[28:31], 0 offset:680 ; 4-byte Folded Spill
	ds_read_b128 v[70:73], v18 offset:16
	ds_read_b128 v[250:253], v19 offset:16384
	buffer_store_dword v19, off, s[28:31], 0 offset:684 ; 4-byte Folded Spill
	ds_read_b128 v[246:249], v19 offset:16400
	ds_read_b128 v[118:121], v20 offset:32768
	buffer_store_dword v20, off, s[28:31], 0 offset:692 ; 4-byte Folded Spill
	ds_read_b128 v[220:223], v20 offset:32784
	ds_read_b128 v[194:197], v22
	buffer_store_dword v22, off, s[28:31], 0 offset:708 ; 4-byte Folded Spill
	ds_read_b128 v[190:193], v22 offset:16
	ds_read_b128 v[178:181], v23 offset:16384
	buffer_store_dword v23, off, s[28:31], 0 offset:712 ; 4-byte Folded Spill
	ds_read_b128 v[174:177], v23 offset:16400
	ds_read_b128 v[12:15], v21 offset:32768
	s_waitcnt lgkmcnt(0)
	buffer_store_dword v12, off, s[28:31], 0 offset:256 ; 4-byte Folded Spill
	s_nop 0
	buffer_store_dword v13, off, s[28:31], 0 offset:260 ; 4-byte Folded Spill
	buffer_store_dword v14, off, s[28:31], 0 offset:264 ; 4-byte Folded Spill
	;; [unrolled: 1-line block ×4, first 2 shown]
	ds_read_b128 v[12:15], v21 offset:32784
	s_waitcnt lgkmcnt(0)
	buffer_store_dword v12, off, s[28:31], 0 offset:240 ; 4-byte Folded Spill
	s_nop 0
	buffer_store_dword v13, off, s[28:31], 0 offset:244 ; 4-byte Folded Spill
	buffer_store_dword v14, off, s[28:31], 0 offset:248 ; 4-byte Folded Spill
	;; [unrolled: 1-line block ×4, first 2 shown]
	ds_read_b128 v[170:173], v24
	ds_read_b128 v[166:169], v24 offset:16
	ds_read_b128 v[154:157], v25 offset:16384
	buffer_store_dword v25, off, s[28:31], 0 offset:732 ; 4-byte Folded Spill
	ds_read_b128 v[150:153], v25 offset:16400
	ds_read_b128 v[12:15], v26 offset:32768
	s_waitcnt lgkmcnt(0)
	buffer_store_dword v12, off, s[28:31], 0 offset:224 ; 4-byte Folded Spill
	s_nop 0
	buffer_store_dword v13, off, s[28:31], 0 offset:228 ; 4-byte Folded Spill
	buffer_store_dword v14, off, s[28:31], 0 offset:232 ; 4-byte Folded Spill
	;; [unrolled: 1-line block ×4, first 2 shown]
	ds_read_b128 v[12:15], v26 offset:32784
	v_lshlrev_b32_e32 v6, 5, v6
	v_add_u32_e32 v6, v18, v6
	s_waitcnt lgkmcnt(0)
	buffer_store_dword v12, off, s[28:31], 0 offset:208 ; 4-byte Folded Spill
	s_nop 0
	buffer_store_dword v13, off, s[28:31], 0 offset:212 ; 4-byte Folded Spill
	buffer_store_dword v14, off, s[28:31], 0 offset:216 ; 4-byte Folded Spill
	;; [unrolled: 1-line block ×4, first 2 shown]
	ds_read_b128 v[66:69], v11
	ds_read_b128 v[238:241], v11 offset:16
	ds_read_b128 v[114:117], v6 offset:16384
	buffer_store_dword v6, off, s[28:31], 0 offset:752 ; 4-byte Folded Spill
	ds_read_b128 v[228:231], v6 offset:16400
	ds_read_b128 v[104:107], v8 offset:32768
	;; [unrolled: 1-line block ×3, first 2 shown]
	buffer_store_dword v8, off, s[28:31], 0 offset:756 ; 4-byte Folded Spill
	; sched_barrier mask(0x00000000)
	v_or_b32_e32 v0, 1, v0
	v_sub_u32_e32 v4, v0, v1
	v_lshlrev_b32_e32 v1, 6, v4
	buffer_store_dword v1, off, s[28:31], 0 offset:772 ; 4-byte Folded Spill
	buffer_store_dword v198, off, s[28:31], 0 offset:788 ; 4-byte Folded Spill
	v_and_b32_e32 v1, 3, v198
	s_add_i32 s15, s15, -1
	v_lshlrev_b32_e32 v1, 7, v1
	v_pk_mov_b32 v[18:19], 0, 0
	s_max_i32 s15, s15, 1
	buffer_store_dword v1, off, s[28:31], 0 offset:776 ; 4-byte Folded Spill
	v_add_lshl_u32 v112, v3, s20, 3
	v_lshlrev_b32_e32 v91, 3, v3
	v_add_u32_e32 v1, -1, v4
	v_add_lshl_u32 v198, v2, s19, 3
	v_lshlrev_b32_e32 v88, 3, v2
	v_mov_b32_e32 v200, v199
	v_pk_mov_b32 v[20:21], v[18:19], v[18:19] op_sel:[0,1]
	v_pk_mov_b32 v[22:23], v[18:19], v[18:19] op_sel:[0,1]
	v_pk_mov_b32 v[24:25], v[18:19], v[18:19] op_sel:[0,1]
	v_pk_mov_b32 v[26:27], v[18:19], v[18:19] op_sel:[0,1]
	v_pk_mov_b32 v[28:29], v[18:19], v[18:19] op_sel:[0,1]
	v_pk_mov_b32 v[30:31], v[18:19], v[18:19] op_sel:[0,1]
	v_pk_mov_b32 v[32:33], v[18:19], v[18:19] op_sel:[0,1]
	v_pk_mov_b32 v[2:3], v[18:19], v[18:19] op_sel:[0,1]
	v_pk_mov_b32 v[4:5], v[18:19], v[18:19] op_sel:[0,1]
	v_pk_mov_b32 v[6:7], v[18:19], v[18:19] op_sel:[0,1]
	v_pk_mov_b32 v[8:9], v[18:19], v[18:19] op_sel:[0,1]
	v_pk_mov_b32 v[10:11], v[18:19], v[18:19] op_sel:[0,1]
	v_pk_mov_b32 v[12:13], v[18:19], v[18:19] op_sel:[0,1]
	v_pk_mov_b32 v[14:15], v[18:19], v[18:19] op_sel:[0,1]
	v_pk_mov_b32 v[16:17], v[18:19], v[18:19] op_sel:[0,1]
	v_pk_mov_b32 v[34:35], v[18:19], v[18:19] op_sel:[0,1]
	v_pk_mov_b32 v[36:37], v[18:19], v[18:19] op_sel:[0,1]
	v_pk_mov_b32 v[38:39], v[18:19], v[18:19] op_sel:[0,1]
	v_pk_mov_b32 v[40:41], v[18:19], v[18:19] op_sel:[0,1]
	v_pk_mov_b32 v[42:43], v[18:19], v[18:19] op_sel:[0,1]
	v_pk_mov_b32 v[44:45], v[18:19], v[18:19] op_sel:[0,1]
	v_pk_mov_b32 v[46:47], v[18:19], v[18:19] op_sel:[0,1]
	v_pk_mov_b32 v[48:49], v[18:19], v[18:19] op_sel:[0,1]
	v_pk_mov_b32 v[50:51], v[18:19], v[18:19] op_sel:[0,1]
	v_pk_mov_b32 v[52:53], v[18:19], v[18:19] op_sel:[0,1]
	v_pk_mov_b32 v[54:55], v[18:19], v[18:19] op_sel:[0,1]
	v_pk_mov_b32 v[56:57], v[18:19], v[18:19] op_sel:[0,1]
	v_pk_mov_b32 v[58:59], v[18:19], v[18:19] op_sel:[0,1]
	v_pk_mov_b32 v[60:61], v[18:19], v[18:19] op_sel:[0,1]
	v_pk_mov_b32 v[62:63], v[18:19], v[18:19] op_sel:[0,1]
	v_pk_mov_b32 v[64:65], v[18:19], v[18:19] op_sel:[0,1]
	buffer_store_dword v1, off, s[28:31], 0 offset:784 ; 4-byte Folded Spill
.LBB1_11:                               ; =>This Inner Loop Header: Depth=1
	s_waitcnt lgkmcnt(0)
	s_barrier
	buffer_load_dword v84, off, s[28:31], 0 offset:580 ; 4-byte Folded Reload
	v_mfma_f64_16x16x4f64 v[58:65], v[74:75], v[118:119], v[58:65]
	; sched_group_barrier mask(0x00000020) size(1) SyncID(0)
	v_ashrrev_i32_e32 v201, 31, v0
	v_lshrrev_b32_e32 v201, 28, v201
	v_add_u32_e32 v201, v0, v201
	v_and_b32_e32 v201, -16, v201
	v_sub_u32_e32 v202, v0, v201
	v_mov_b32_e32 v113, v112
	v_mov_b32_e32 v112, v199
	v_lshlrev_b32_e32 v199, 3, v200
	ds_write_b128 v199, v[142:145] offset:16
	v_not_b32_e32 v90, 63
	v_pk_mov_b32 v[142:143], v[224:225], v[224:225] op_sel:[0,1]
	v_pk_mov_b32 v[144:145], v[226:227], v[226:227] op_sel:[0,1]
	buffer_load_dword v224, off, s[28:31], 0 offset:452 ; 4-byte Folded Reload
	buffer_load_dword v225, off, s[28:31], 0 offset:456 ; 4-byte Folded Reload
	;; [unrolled: 1-line block ×3, first 2 shown]
	v_mfma_f64_16x16x4f64 v[34:41], v[74:75], v[122:123], v[34:41]
	buffer_load_dword v227, off, s[28:31], 0 offset:464 ; 4-byte Folded Reload
	v_mfma_f64_16x16x4f64 v[58:65], v[76:77], v[120:121], v[58:65]
	buffer_load_dword v85, off, s[28:31], 0 offset:584 ; 4-byte Folded Reload
	; sched_group_barrier mask(0x00000008) size(3) SyncID(0)
	; sched_group_barrier mask(0x00000020) size(1) SyncID(0)
	v_mfma_f64_16x16x4f64 v[10:17], v[250:251], v[118:119], v[10:17]
	v_mfma_f64_16x16x4f64 v[34:41], v[76:77], v[124:125], v[34:41]
	;; [unrolled: 1-line block ×3, first 2 shown]
	buffer_load_dword v86, off, s[28:31], 0 offset:588 ; 4-byte Folded Reload
	; sched_group_barrier mask(0x00000008) size(3) SyncID(0)
	; sched_group_barrier mask(0x00000020) size(1) SyncID(0)
	v_mfma_f64_16x16x4f64 v[18:25], v[250:251], v[122:123], v[18:25]
	v_mfma_f64_16x16x4f64 v[10:17], v[252:253], v[120:121], v[10:17]
	buffer_load_dword v118, off, s[28:31], 0 offset:240 ; 4-byte Folded Reload
	buffer_load_dword v119, off, s[28:31], 0 offset:244 ; 4-byte Folded Reload
	;; [unrolled: 1-line block ×4, first 2 shown]
	v_mfma_f64_16x16x4f64 v[34:41], v[72:73], v[110:111], v[34:41]
	buffer_load_dword v87, off, s[28:31], 0 offset:592 ; 4-byte Folded Reload
	; sched_group_barrier mask(0x00000008) size(3) SyncID(0)
	; sched_group_barrier mask(0x00000020) size(1) SyncID(0)
	v_mfma_f64_16x16x4f64 v[18:25], v[252:253], v[124:125], v[18:25]
	buffer_load_dword v122, off, s[28:31], 0 offset:256 ; 4-byte Folded Reload
	buffer_load_dword v123, off, s[28:31], 0 offset:260 ; 4-byte Folded Reload
	;; [unrolled: 1-line block ×4, first 2 shown]
	v_mfma_f64_16x16x4f64 v[18:25], v[246:247], v[108:109], v[18:25]
	v_mfma_f64_16x16x4f64 v[18:25], v[248:249], v[110:111], v[18:25]
	buffer_load_dword v1, off, s[28:31], 0 offset:272 ; 4-byte Folded Reload
	buffer_load_dword v78, off, s[28:31], 0 offset:772 ; 4-byte Folded Reload
	;; [unrolled: 1-line block ×6, first 2 shown]
	; sched_group_barrier mask(0x00000008) size(3) SyncID(0)
	; sched_group_barrier mask(0x00000020) size(1) SyncID(0)
	s_waitcnt vmcnt(10)
	ds_write_b128 v199, v[84:87]
	s_waitcnt vmcnt(5)
	v_xor_b32_e32 v201, v202, v1
	v_sub_u32_e32 v203, v201, v203
	s_waitcnt vmcnt(4)
	v_lshl_add_u32 v203, v203, 2, v78
	v_lshlrev_b32_e32 v204, 3, v203
	v_add_u32_e32 v199, v199, v204
	ds_write_b128 v199, v[206:209] offset:16
	buffer_load_dword v209, off, s[28:31], 0 offset:668 ; 4-byte Folded Reload
	ds_write_b128 v199, v[80:83]
	v_pk_mov_b32 v[82:83], v[242:243], v[242:243] op_sel:[0,1]
	v_pk_mov_b32 v[84:85], v[244:245], v[244:245] op_sel:[0,1]
	;; [unrolled: 1-line block ×4, first 2 shown]
	s_waitcnt vmcnt(0)
	v_xor_b32_e32 v205, v202, v209
	v_sub_u32_e32 v206, v205, v201
	v_lshlrev_b32_e32 v207, 5, v206
	v_add_u32_e32 v199, v199, v207
	ds_write_b128 v199, v[234:237] offset:16
	buffer_load_dword v234, off, s[28:31], 0 offset:16 ; 4-byte Folded Reload
	buffer_load_dword v235, off, s[28:31], 0 offset:20 ; 4-byte Folded Reload
	;; [unrolled: 1-line block ×4, first 2 shown]
	s_waitcnt vmcnt(2)
	v_mfma_f64_16x16x4f64 v[50:57], v[74:75], v[234:235], v[50:57]
	v_mfma_f64_16x16x4f64 v[2:9], v[250:251], v[234:235], v[2:9]
	v_add_u32_e32 v201, -1, v0
	v_ashrrev_i32_e32 v208, 31, v201
	v_lshrrev_b32_e32 v208, 28, v208
	v_add_u32_e32 v208, v201, v208
	v_and_b32_e32 v208, -16, v208
	v_sub_u32_e32 v255, v201, v208
	v_xor_b32_e32 v208, v255, v209
	v_sub_u32_e32 v205, v208, v205
	v_lshl_add_u32 v205, v205, 2, v90
	v_lshlrev_b32_e32 v209, 3, v205
	v_add_u32_e32 v210, v199, v209
	v_lshlrev_b32_e32 v206, 2, v206
	s_waitcnt vmcnt(0)
	v_mfma_f64_16x16x4f64 v[50:57], v[76:77], v[236:237], v[50:57]
	buffer_load_dword v78, off, s[28:31], 0 offset:532 ; 4-byte Folded Reload
	v_mfma_f64_16x16x4f64 v[2:9], v[252:253], v[236:237], v[2:9]
	buffer_load_dword v79, off, s[28:31], 0 offset:536 ; 4-byte Folded Reload
	buffer_load_dword v80, off, s[28:31], 0 offset:540 ; 4-byte Folded Reload
	;; [unrolled: 1-line block ×3, first 2 shown]
	s_waitcnt vmcnt(0)
	ds_write_b128 v199, v[78:81]
	buffer_load_dword v78, off, s[28:31], 0 offset:388 ; 4-byte Folded Reload
	buffer_load_dword v79, off, s[28:31], 0 offset:392 ; 4-byte Folded Reload
	buffer_load_dword v80, off, s[28:31], 0 offset:396 ; 4-byte Folded Reload
	buffer_load_dword v81, off, s[28:31], 0 offset:400 ; 4-byte Folded Reload
	v_add_u32_e32 v199, 16, v199
	v_add_u32_e32 v199, v199, v209
	s_waitcnt vmcnt(0)
	ds_write_b128 v210, v[78:81]
	buffer_load_dword v78, off, s[28:31], 0 offset:404 ; 4-byte Folded Reload
	buffer_load_dword v79, off, s[28:31], 0 offset:408 ; 4-byte Folded Reload
	;; [unrolled: 1-line block ×5, first 2 shown]
	s_waitcnt vmcnt(1)
	ds_write_b128 v199, v[78:81]
	buffer_load_dword v78, off, s[28:31], 0 offset:420 ; 4-byte Folded Reload
	buffer_load_dword v79, off, s[28:31], 0 offset:424 ; 4-byte Folded Reload
	;; [unrolled: 1-line block ×4, first 2 shown]
	s_waitcnt vmcnt(4)
	v_xor_b32_e32 v211, v255, v213
	v_sub_u32_e32 v208, v211, v208
	v_lshlrev_b32_e32 v232, 5, v208
	v_add_u32_e32 v210, v210, v232
	v_xor_b32_e32 v213, v202, v213
	v_sub_u32_e32 v211, v213, v211
	v_add_u32_e32 v199, v199, v232
	v_lshlrev_b32_e32 v214, 5, v211
	v_lshl_add_u32 v233, v211, 2, 64
	v_lshlrev_b32_e32 v215, 3, v233
	v_lshlrev_b32_e32 v208, 2, v208
	s_waitcnt vmcnt(0)
	ds_write_b128 v210, v[78:81]
	buffer_load_dword v78, off, s[28:31], 0 offset:436 ; 4-byte Folded Reload
	buffer_load_dword v79, off, s[28:31], 0 offset:440 ; 4-byte Folded Reload
	;; [unrolled: 1-line block ×8, first 2 shown]
	s_waitcnt vmcnt(4)
	ds_write_b128 v199, v[78:81]
	v_add_u32_e32 v199, v199, v214
	s_waitcnt vmcnt(0)
	ds_write_b128 v199, v[216:219] offset:512
	buffer_load_dword v216, off, s[28:31], 0 offset:484 ; 4-byte Folded Reload
	buffer_load_dword v217, off, s[28:31], 0 offset:488 ; 4-byte Folded Reload
	;; [unrolled: 1-line block ×4, first 2 shown]
	v_add_u32_e32 v199, v210, v215
	s_waitcnt vmcnt(0)
	ds_write_b128 v199, v[216:219]
	buffer_load_dword v218, off, s[28:31], 0 offset:676 ; 4-byte Folded Reload
	s_waitcnt vmcnt(0)
	v_xor_b32_e32 v202, v202, v218
	v_sub_u32_e32 v210, v202, v213
	v_lshlrev_b32_e32 v219, 5, v210
	v_add_u32_e32 v216, v199, v219
	v_add3_u32 v199, v200, v203, v206
	v_lshlrev_b32_e32 v254, 2, v210
	v_add3_u32 v199, v199, v205, v208
	v_add3_u32 v1, v199, v233, v254
	buffer_store_dword v1, off, s[28:31], 0 offset:660 ; 4-byte Folded Spill
	v_lshlrev_b32_e32 v217, 3, v1
	v_mov_b32_e32 v1, v198
	buffer_load_dword v198, off, s[28:31], 0 offset:468 ; 4-byte Folded Reload
	buffer_load_dword v199, off, s[28:31], 0 offset:472 ; 4-byte Folded Reload
	;; [unrolled: 1-line block ×8, first 2 shown]
	v_xor_b32_e32 v78, v255, v218
	ds_write_b128 v216, v[224:227]
	buffer_store_dword v78, off, s[28:31], 0 offset:664 ; 4-byte Folded Spill
	buffer_load_dword v224, off, s[28:31], 0 offset:32 ; 4-byte Folded Reload
	buffer_load_dword v225, off, s[28:31], 0 offset:36 ; 4-byte Folded Reload
	;; [unrolled: 1-line block ×4, first 2 shown]
	s_waitcnt vmcnt(9)
	ds_write_b128 v217, v[198:201] offset:16
	v_sub_u32_e32 v199, v78, v202
	v_lshl_add_u32 v218, v199, 2, v90
	v_lshlrev_b32_e32 v202, 3, v218
	v_add3_u32 v217, v217, 16, v202
	s_waitcnt vmcnt(5)
	ds_write_b128 v217, v[210:213]
	buffer_load_dword v210, off, s[28:31], 0 offset:292 ; 4-byte Folded Reload
	buffer_load_dword v211, off, s[28:31], 0 offset:296 ; 4-byte Folded Reload
	;; [unrolled: 1-line block ×5, first 2 shown]
	v_add_u32_e32 v216, v216, v202
	v_mov_b32_e32 v217, v88
	buffer_load_dword v86, off, s[28:31], 0 offset:128 ; 4-byte Folded Reload
	buffer_load_dword v87, off, s[28:31], 0 offset:132 ; 4-byte Folded Reload
	;; [unrolled: 1-line block ×4, first 2 shown]
	s_waitcnt vmcnt(5)
	ds_write_b128 v216, v[210:213]
	s_waitcnt vmcnt(4)
	v_add_u32_e32 v216, v90, v217
	buffer_load_dwordx4 v[78:81], v216, s[0:3], 0 offen offset:1024
	v_pk_mov_b32 v[210:211], v[220:221], v[220:221] op_sel:[0,1]
	v_pk_mov_b32 v[212:213], v[222:223], v[222:223] op_sel:[0,1]
	buffer_load_dword v220, off, s[28:31], 0 offset:96 ; 4-byte Folded Reload
	buffer_load_dword v221, off, s[28:31], 0 offset:100 ; 4-byte Folded Reload
	;; [unrolled: 1-line block ×4, first 2 shown]
	v_mfma_f64_16x16x4f64 v[58:65], v[70:71], v[210:211], v[58:65]
	s_waitcnt vmcnt(2)
	v_mfma_f64_16x16x4f64 v[42:49], v[74:75], v[220:221], v[42:49]
	v_mfma_f64_16x16x4f64 v[58:65], v[72:73], v[212:213], v[58:65]
	buffer_store_dword v78, off, s[28:31], 0 offset:580 ; 4-byte Folded Spill
	s_nop 0
	buffer_store_dword v79, off, s[28:31], 0 offset:584 ; 4-byte Folded Spill
	buffer_store_dword v80, off, s[28:31], 0 offset:588 ; 4-byte Folded Spill
	;; [unrolled: 1-line block ×3, first 2 shown]
	buffer_load_dwordx4 v[78:81], v216, s[0:3], 0 offen offset:1040
	s_waitcnt vmcnt(0)
	buffer_store_dword v78, off, s[28:31], 0 offset:644 ; 4-byte Folded Spill
	s_nop 0
	buffer_store_dword v79, off, s[28:31], 0 offset:648 ; 4-byte Folded Spill
	buffer_store_dword v80, off, s[28:31], 0 offset:652 ; 4-byte Folded Spill
	;; [unrolled: 1-line block ×3, first 2 shown]
	buffer_load_dwordx4 v[198:201], v216, s[0:3], 0 offen offset:1056
	s_nop 0
	buffer_load_dword v78, off, s[28:31], 0 ; 4-byte Folded Reload
	buffer_load_dword v79, off, s[28:31], 0 offset:4 ; 4-byte Folded Reload
	buffer_load_dword v80, off, s[28:31], 0 offset:8 ; 4-byte Folded Reload
	;; [unrolled: 1-line block ×3, first 2 shown]
	s_waitcnt vmcnt(2)
	v_mfma_f64_16x16x4f64 v[50:57], v[70:71], v[78:79], v[50:57]
	buffer_store_dword v198, off, s[28:31], 0 offset:388 ; 4-byte Folded Spill
	s_nop 0
	buffer_store_dword v199, off, s[28:31], 0 offset:392 ; 4-byte Folded Spill
	buffer_store_dword v200, off, s[28:31], 0 offset:396 ; 4-byte Folded Spill
	;; [unrolled: 1-line block ×3, first 2 shown]
	buffer_load_dwordx4 v[198:201], v216, s[0:3], 0 offen offset:1072
	s_waitcnt vmcnt(5)
	v_mfma_f64_16x16x4f64 v[50:57], v[72:73], v[80:81], v[50:57]
	v_mfma_f64_16x16x4f64 v[42:49], v[76:77], v[222:223], v[42:49]
	;; [unrolled: 1-line block ×4, first 2 shown]
	s_waitcnt vmcnt(0)
	buffer_store_dword v198, off, s[28:31], 0 offset:404 ; 4-byte Folded Spill
	s_nop 0
	buffer_store_dword v199, off, s[28:31], 0 offset:408 ; 4-byte Folded Spill
	buffer_store_dword v200, off, s[28:31], 0 offset:412 ; 4-byte Folded Spill
	;; [unrolled: 1-line block ×3, first 2 shown]
	buffer_load_dwordx4 v[198:201], v216, s[0:3], 0 offen offset:1088
	s_waitcnt vmcnt(0)
	buffer_store_dword v198, off, s[28:31], 0 offset:420 ; 4-byte Folded Spill
	s_nop 0
	buffer_store_dword v199, off, s[28:31], 0 offset:424 ; 4-byte Folded Spill
	buffer_store_dword v200, off, s[28:31], 0 offset:428 ; 4-byte Folded Spill
	;; [unrolled: 1-line block ×3, first 2 shown]
	buffer_load_dwordx4 v[74:77], v216, s[0:3], 0 offen offset:1104
	v_mov_b32_e32 v198, v1
	s_waitcnt vmcnt(0)
	buffer_store_dword v74, off, s[28:31], 0 offset:436 ; 4-byte Folded Spill
	s_nop 0
	buffer_store_dword v75, off, s[28:31], 0 offset:440 ; 4-byte Folded Spill
	buffer_store_dword v76, off, s[28:31], 0 offset:444 ; 4-byte Folded Spill
	;; [unrolled: 1-line block ×3, first 2 shown]
	buffer_load_dwordx4 v[70:73], v216, s[0:3], 0 offen offset:1136
	s_waitcnt vmcnt(0)
	buffer_store_dword v70, off, s[28:31], 0 offset:372 ; 4-byte Folded Spill
	s_nop 0
	buffer_store_dword v71, off, s[28:31], 0 offset:376 ; 4-byte Folded Spill
	buffer_store_dword v72, off, s[28:31], 0 offset:380 ; 4-byte Folded Spill
	;; [unrolled: 1-line block ×3, first 2 shown]
	buffer_load_dwordx4 v[70:73], v216, s[0:3], 0 offen offset:1120
	s_waitcnt vmcnt(0)
	buffer_store_dword v70, off, s[28:31], 0 offset:292 ; 4-byte Folded Spill
	s_nop 0
	buffer_store_dword v71, off, s[28:31], 0 offset:296 ; 4-byte Folded Spill
	buffer_store_dword v72, off, s[28:31], 0 offset:300 ; 4-byte Folded Spill
	buffer_store_dword v73, off, s[28:31], 0 offset:304 ; 4-byte Folded Spill
	v_add_u32_e32 v70, v90, v198
	buffer_load_dwordx4 v[72:75], v70, s[0:3], 0 offen offset:1120
	v_lshlrev_b32_e32 v71, 3, v112
	s_waitcnt vmcnt(0)
	buffer_store_dword v72, off, s[28:31], 0 offset:452 ; 4-byte Folded Spill
	s_nop 0
	buffer_store_dword v73, off, s[28:31], 0 offset:456 ; 4-byte Folded Spill
	buffer_store_dword v74, off, s[28:31], 0 offset:460 ; 4-byte Folded Spill
	;; [unrolled: 1-line block ×3, first 2 shown]
	buffer_load_dwordx4 v[72:75], v70, s[0:3], 0 offen offset:1136
	s_waitcnt vmcnt(0)
	buffer_store_dword v72, off, s[28:31], 0 offset:468 ; 4-byte Folded Spill
	s_nop 0
	buffer_store_dword v73, off, s[28:31], 0 offset:472 ; 4-byte Folded Spill
	buffer_store_dword v74, off, s[28:31], 0 offset:476 ; 4-byte Folded Spill
	buffer_store_dword v75, off, s[28:31], 0 offset:480 ; 4-byte Folded Spill
	buffer_load_dwordx4 v[72:75], v70, s[0:3], 0 offen offset:1104
	s_waitcnt vmcnt(0)
	buffer_store_dword v72, off, s[28:31], 0 offset:500 ; 4-byte Folded Spill
	s_nop 0
	buffer_store_dword v73, off, s[28:31], 0 offset:504 ; 4-byte Folded Spill
	buffer_store_dword v74, off, s[28:31], 0 offset:508 ; 4-byte Folded Spill
	buffer_store_dword v75, off, s[28:31], 0 offset:512 ; 4-byte Folded Spill
	buffer_load_dword v72, off, s[28:31], 0 offset:276 ; 4-byte Folded Reload
	s_nop 0
	buffer_load_dword v73, off, s[28:31], 0 offset:280 ; 4-byte Folded Reload
	buffer_load_dword v74, off, s[28:31], 0 offset:284 ; 4-byte Folded Reload
	;; [unrolled: 1-line block ×3, first 2 shown]
	s_waitcnt vmcnt(0)
	ds_write_b128 v71, v[72:75] offset:32768
	buffer_load_dword v72, off, s[28:31], 0 offset:324 ; 4-byte Folded Reload
	buffer_load_dword v73, off, s[28:31], 0 offset:328 ; 4-byte Folded Reload
	;; [unrolled: 1-line block ×4, first 2 shown]
	s_waitcnt vmcnt(0)
	ds_write_b128 v71, v[72:75] offset:32784
	buffer_load_dword v72, off, s[28:31], 0 offset:340 ; 4-byte Folded Reload
	buffer_load_dword v73, off, s[28:31], 0 offset:344 ; 4-byte Folded Reload
	;; [unrolled: 1-line block ×4, first 2 shown]
	v_add_u32_e32 v71, v204, v71
	ds_write_b128 v71, v[96:99] offset:32784
	ds_write_b128 v71, v[242:245] offset:32768
	v_add_u32_e32 v71, v71, v207
	ds_write_b128 v71, v[92:95] offset:32768
	ds_write_b128 v71, v[100:103] offset:32784
	v_add3_u32 v71, v71, s11, v209
	buffer_load_dword v92, off, s[28:31], 0 offset:144 ; 4-byte Folded Reload
	buffer_load_dword v93, off, s[28:31], 0 offset:148 ; 4-byte Folded Reload
	buffer_load_dword v94, off, s[28:31], 0 offset:152 ; 4-byte Folded Reload
	buffer_load_dword v95, off, s[28:31], 0 offset:156 ; 4-byte Folded Reload
	s_waitcnt vmcnt(2)
	v_mfma_f64_16x16x4f64 v[34:41], v[194:195], v[92:93], v[34:41]
	buffer_load_dword v96, off, s[28:31], 0 offset:160 ; 4-byte Folded Reload
	buffer_load_dword v97, off, s[28:31], 0 offset:164 ; 4-byte Folded Reload
	;; [unrolled: 1-line block ×8, first 2 shown]
	ds_write_b128 v71, v[72:75]
	buffer_load_dword v74, off, s[28:31], 0 offset:308 ; 4-byte Folded Reload
	buffer_load_dword v75, off, s[28:31], 0 offset:312 ; 4-byte Folded Reload
	;; [unrolled: 1-line block ×4, first 2 shown]
	v_add_u32_e32 v72, v203, v112
	v_add3_u32 v72, v72, v206, v205
	v_lshlrev_b32_e32 v73, 3, v72
	v_add_u32_e32 v71, v71, v232
	v_add_u32_e32 v72, v72, v208
	v_mov_b32_e32 v112, v113
	s_waitcnt vmcnt(12)
	v_mfma_f64_16x16x4f64 v[34:41], v[196:197], v[94:95], v[34:41]
	v_mfma_f64_16x16x4f64 v[2:9], v[246:247], v[78:79], v[2:9]
	v_mfma_f64_16x16x4f64 v[2:9], v[248:249], v[80:81], v[2:9]
	buffer_load_dword v78, off, s[28:31], 0 offset:112 ; 4-byte Folded Reload
	buffer_load_dword v79, off, s[28:31], 0 offset:116 ; 4-byte Folded Reload
	;; [unrolled: 1-line block ×4, first 2 shown]
	s_waitcnt vmcnt(2)
	v_mfma_f64_16x16x4f64 v[34:41], v[190:191], v[78:79], v[34:41]
	ds_write_b128 v73, v[74:77] offset:32768
	buffer_load_dword v74, off, s[28:31], 0 offset:356 ; 4-byte Folded Reload
	buffer_load_dword v75, off, s[28:31], 0 offset:360 ; 4-byte Folded Reload
	;; [unrolled: 1-line block ×4, first 2 shown]
	v_add3_u32 v73, v73, s14, v232
	s_waitcnt vmcnt(4)
	v_mfma_f64_16x16x4f64 v[34:41], v[192:193], v[80:81], v[34:41]
	v_mfma_f64_16x16x4f64 v[34:41], v[170:171], v[162:163], v[34:41]
	v_mfma_f64_16x16x4f64 v[34:41], v[172:173], v[164:165], v[34:41]
	v_mfma_f64_16x16x4f64 v[34:41], v[166:167], v[146:147], v[34:41]
	v_mfma_f64_16x16x4f64 v[34:41], v[168:169], v[148:149], v[34:41]
	v_mfma_f64_16x16x4f64 v[34:41], v[66:67], v[182:183], v[34:41]
	v_mfma_f64_16x16x4f64 v[34:41], v[68:69], v[184:185], v[34:41]
	v_mfma_f64_16x16x4f64 v[18:25], v[178:179], v[92:93], v[18:25]
	v_mfma_f64_16x16x4f64 v[34:41], v[238:239], v[130:131], v[34:41]
	v_mfma_f64_16x16x4f64 v[18:25], v[180:181], v[94:95], v[18:25]
	buffer_load_dword v92, off, s[28:31], 0 offset:80 ; 4-byte Folded Reload
	buffer_load_dword v93, off, s[28:31], 0 offset:84 ; 4-byte Folded Reload
	buffer_load_dword v94, off, s[28:31], 0 offset:88 ; 4-byte Folded Reload
	buffer_load_dword v95, off, s[28:31], 0 offset:92 ; 4-byte Folded Reload
	s_waitcnt vmcnt(4)
	ds_write_b128 v73, v[74:77]
	buffer_load_dwordx4 v[74:77], v70, s[0:3], 0 offen offset:1088
	v_mfma_f64_16x16x4f64 v[18:25], v[174:175], v[78:79], v[18:25]
	v_add3_u32 v79, v72, v233, v254
	v_lshlrev_b32_e32 v72, 3, v79
	v_mfma_f64_16x16x4f64 v[26:33], v[250:251], v[220:221], v[26:33]
	v_mfma_f64_16x16x4f64 v[34:41], v[240:241], v[132:133], v[34:41]
	;; [unrolled: 1-line block ×9, first 2 shown]
	s_waitcnt vmcnt(0)
	buffer_store_dword v74, off, s[28:31], 0 offset:484 ; 4-byte Folded Spill
	s_nop 0
	buffer_store_dword v75, off, s[28:31], 0 offset:488 ; 4-byte Folded Spill
	buffer_store_dword v76, off, s[28:31], 0 offset:492 ; 4-byte Folded Spill
	;; [unrolled: 1-line block ×3, first 2 shown]
	buffer_load_dwordx4 v[74:77], v70, s[0:3], 0 offen offset:1056
	s_nop 0
	buffer_load_dwordx4 v[204:207], v70, s[0:3], 0 offen offset:1024
	buffer_load_dwordx4 v[242:245], v70, s[0:3], 0 offen offset:1040
	s_waitcnt vmcnt(2)
	buffer_store_dword v74, off, s[28:31], 0 offset:532 ; 4-byte Folded Spill
	s_nop 0
	buffer_store_dword v75, off, s[28:31], 0 offset:536 ; 4-byte Folded Spill
	buffer_store_dword v76, off, s[28:31], 0 offset:540 ; 4-byte Folded Spill
	;; [unrolled: 1-line block ×3, first 2 shown]
	buffer_load_dwordx4 v[234:237], v70, s[0:3], 0 offen offset:1072
	v_add_u32_e32 v70, v90, v91
	buffer_load_dwordx4 v[74:77], v70, s[4:7], 0 offen offset:1024
	s_waitcnt vmcnt(0)
	buffer_store_dword v74, off, s[28:31], 0 offset:276 ; 4-byte Folded Spill
	s_nop 0
	buffer_store_dword v75, off, s[28:31], 0 offset:280 ; 4-byte Folded Spill
	buffer_store_dword v76, off, s[28:31], 0 offset:284 ; 4-byte Folded Spill
	buffer_store_dword v77, off, s[28:31], 0 offset:288 ; 4-byte Folded Spill
	buffer_load_dwordx4 v[74:77], v70, s[4:7], 0 offen offset:1040
	s_waitcnt vmcnt(0)
	buffer_store_dword v74, off, s[28:31], 0 offset:324 ; 4-byte Folded Spill
	s_nop 0
	buffer_store_dword v75, off, s[28:31], 0 offset:328 ; 4-byte Folded Spill
	buffer_store_dword v76, off, s[28:31], 0 offset:332 ; 4-byte Folded Spill
	buffer_store_dword v77, off, s[28:31], 0 offset:336 ; 4-byte Folded Spill
	;; [unrolled: 7-line block ×5, first 2 shown]
	buffer_load_dword v74, off, s[28:31], 0 offset:516 ; 4-byte Folded Reload
	s_nop 0
	buffer_load_dword v75, off, s[28:31], 0 offset:520 ; 4-byte Folded Reload
	buffer_load_dword v76, off, s[28:31], 0 offset:524 ; 4-byte Folded Reload
	;; [unrolled: 1-line block ×3, first 2 shown]
	s_waitcnt vmcnt(0)
	ds_write_b128 v71, v[74:77]
	buffer_load_dwordx4 v[74:77], v70, s[4:7], 0 offen offset:1104
	v_add_u32_e32 v71, v71, v214
	s_waitcnt vmcnt(0)
	buffer_store_dword v74, off, s[28:31], 0 offset:516 ; 4-byte Folded Spill
	s_nop 0
	buffer_store_dword v75, off, s[28:31], 0 offset:520 ; 4-byte Folded Spill
	buffer_store_dword v76, off, s[28:31], 0 offset:524 ; 4-byte Folded Spill
	;; [unrolled: 1-line block ×3, first 2 shown]
	buffer_load_dword v74, off, s[28:31], 0 offset:628 ; 4-byte Folded Reload
	s_nop 0
	buffer_load_dword v75, off, s[28:31], 0 offset:632 ; 4-byte Folded Reload
	buffer_load_dword v76, off, s[28:31], 0 offset:636 ; 4-byte Folded Reload
	;; [unrolled: 1-line block ×3, first 2 shown]
	s_waitcnt vmcnt(0)
	ds_write_b128 v71, v[74:77] offset:512
	buffer_load_dword v74, off, s[28:31], 0 offset:564 ; 4-byte Folded Reload
	buffer_load_dword v75, off, s[28:31], 0 offset:568 ; 4-byte Folded Reload
	;; [unrolled: 1-line block ×4, first 2 shown]
	v_add_u32_e32 v71, v73, v215
	ds_write_b128 v71, v[142:145]
	v_add_u32_e32 v71, v71, v219
	s_waitcnt vmcnt(0)
	ds_write_b128 v71, v[74:77]
	buffer_load_dword v74, off, s[28:31], 0 offset:612 ; 4-byte Folded Reload
	buffer_load_dword v75, off, s[28:31], 0 offset:616 ; 4-byte Folded Reload
	;; [unrolled: 1-line block ×4, first 2 shown]
	v_add_u32_e32 v71, v71, v202
	s_waitcnt vmcnt(0)
	ds_write_b128 v72, v[74:77] offset:32784
	buffer_load_dword v74, off, s[28:31], 0 offset:596 ; 4-byte Folded Reload
	buffer_load_dword v75, off, s[28:31], 0 offset:600 ; 4-byte Folded Reload
	;; [unrolled: 1-line block ×4, first 2 shown]
	v_add3_u32 v72, v72, s11, v202
	s_waitcnt vmcnt(0)
	ds_write_b128 v72, v[74:77]
	buffer_load_dword v72, off, s[28:31], 0 offset:548 ; 4-byte Folded Reload
	buffer_load_dword v73, off, s[28:31], 0 offset:552 ; 4-byte Folded Reload
	;; [unrolled: 1-line block ×4, first 2 shown]
	s_waitcnt vmcnt(0)
	ds_write_b128 v71, v[72:75]
	buffer_load_dwordx4 v[72:75], v70, s[4:7], 0 offen offset:1136
	s_waitcnt vmcnt(0)
	buffer_store_dword v72, off, s[28:31], 0 offset:596 ; 4-byte Folded Spill
	s_nop 0
	buffer_store_dword v73, off, s[28:31], 0 offset:600 ; 4-byte Folded Spill
	buffer_store_dword v74, off, s[28:31], 0 offset:604 ; 4-byte Folded Spill
	;; [unrolled: 1-line block ×3, first 2 shown]
	buffer_load_dwordx4 v[70:73], v70, s[4:7], 0 offen offset:1120
	s_waitcnt vmcnt(0)
	buffer_store_dword v70, off, s[28:31], 0 offset:548 ; 4-byte Folded Spill
	s_nop 0
	buffer_store_dword v71, off, s[28:31], 0 offset:552 ; 4-byte Folded Spill
	buffer_store_dword v72, off, s[28:31], 0 offset:556 ; 4-byte Folded Spill
	;; [unrolled: 1-line block ×3, first 2 shown]
	v_add_u32_e32 v70, v90, v112
	buffer_load_dwordx4 v[72:75], v70, s[4:7], 0 offen offset:1120
	s_waitcnt vmcnt(0)
	buffer_store_dword v72, off, s[28:31], 0 offset:564 ; 4-byte Folded Spill
	s_nop 0
	buffer_store_dword v73, off, s[28:31], 0 offset:568 ; 4-byte Folded Spill
	buffer_store_dword v74, off, s[28:31], 0 offset:572 ; 4-byte Folded Spill
	;; [unrolled: 1-line block ×3, first 2 shown]
	buffer_load_dword v72, off, s[28:31], 0 offset:64 ; 4-byte Folded Reload
	s_nop 0
	buffer_load_dword v73, off, s[28:31], 0 offset:68 ; 4-byte Folded Reload
	buffer_load_dword v74, off, s[28:31], 0 offset:72 ; 4-byte Folded Reload
	;; [unrolled: 1-line block ×3, first 2 shown]
	s_waitcnt vmcnt(2)
	v_mfma_f64_16x16x4f64 v[26:33], v[154:155], v[72:73], v[26:33]
	s_waitcnt vmcnt(0)
	v_mfma_f64_16x16x4f64 v[26:33], v[156:157], v[74:75], v[26:33]
	v_mfma_f64_16x16x4f64 v[26:33], v[150:151], v[158:159], v[26:33]
	;; [unrolled: 1-line block ×6, first 2 shown]
	; sched_group_barrier mask(0x00000008) size(3) SyncID(0)
	; sched_group_barrier mask(0x00000020) size(1) SyncID(0)
	v_mfma_f64_16x16x4f64 v[26:33], v[228:229], v[126:127], v[26:33]
	v_mfma_f64_16x16x4f64 v[42:49], v[196:197], v[98:99], v[42:49]
	buffer_load_dwordx4 v[96:99], v70, s[4:7], 0 offen offset:1136
	v_mfma_f64_16x16x4f64 v[26:33], v[230:231], v[128:129], v[26:33]
	v_mfma_f64_16x16x4f64 v[42:49], v[190:191], v[86:87], v[42:49]
	;; [unrolled: 1-line block ×3, first 2 shown]
	buffer_load_dword v86, off, s[28:31], 0 offset:48 ; 4-byte Folded Reload
	buffer_load_dword v87, off, s[28:31], 0 offset:52 ; 4-byte Folded Reload
	;; [unrolled: 1-line block ×4, first 2 shown]
	v_mfma_f64_16x16x4f64 v[42:49], v[170:171], v[72:73], v[42:49]
	v_mfma_f64_16x16x4f64 v[42:49], v[172:173], v[74:75], v[42:49]
	;; [unrolled: 1-line block ×7, first 2 shown]
	; sched_group_barrier mask(0x00000008) size(3) SyncID(0)
	; sched_group_barrier mask(0x00000020) size(1) SyncID(0)
	;; [unrolled: 1-line block ×4, first 2 shown]
	v_mfma_f64_16x16x4f64 v[42:49], v[238:239], v[126:127], v[42:49]
	v_mfma_f64_16x16x4f64 v[18:25], v[154:155], v[162:163], v[18:25]
	;; [unrolled: 1-line block ×4, first 2 shown]
	s_waitcnt vmcnt(4)
	buffer_store_dword v96, off, s[28:31], 0 offset:612 ; 4-byte Folded Spill
	v_mfma_f64_16x16x4f64 v[18:25], v[150:151], v[146:147], v[18:25]
	buffer_store_dword v97, off, s[28:31], 0 offset:616 ; 4-byte Folded Spill
	buffer_store_dword v98, off, s[28:31], 0 offset:620 ; 4-byte Folded Spill
	;; [unrolled: 1-line block ×3, first 2 shown]
	buffer_load_dwordx4 v[96:99], v70, s[4:7], 0 offen offset:1104
	v_mfma_f64_16x16x4f64 v[18:25], v[152:153], v[148:149], v[18:25]
	v_mfma_f64_16x16x4f64 v[2:9], v[178:179], v[108:109], v[2:9]
	; sched_group_barrier mask(0x00000008) size(3) SyncID(0)
	; sched_group_barrier mask(0x00000020) size(1) SyncID(0)
	;; [unrolled: 1-line block ×4, first 2 shown]
	v_mfma_f64_16x16x4f64 v[18:25], v[114:115], v[182:183], v[18:25]
	v_mfma_f64_16x16x4f64 v[2:9], v[180:181], v[110:111], v[2:9]
	;; [unrolled: 1-line block ×9, first 2 shown]
	s_waitcnt vmcnt(7)
	v_mfma_f64_16x16x4f64 v[2:9], v[150:151], v[86:87], v[2:9]
	s_waitcnt vmcnt(5)
	v_mfma_f64_16x16x4f64 v[2:9], v[152:153], v[88:89], v[2:9]
	v_mfma_f64_16x16x4f64 v[10:17], v[246:247], v[210:211], v[10:17]
	; sched_group_barrier mask(0x00000008) size(3) SyncID(0)
	; sched_group_barrier mask(0x00000020) size(1) SyncID(0)
	;; [unrolled: 1-line block ×4, first 2 shown]
	v_mfma_f64_16x16x4f64 v[2:9], v[114:115], v[138:139], v[2:9]
	v_mfma_f64_16x16x4f64 v[10:17], v[248:249], v[212:213], v[10:17]
	;; [unrolled: 1-line block ×4, first 2 shown]
	s_waitcnt vmcnt(0)
	buffer_store_dword v96, off, s[28:31], 0 offset:628 ; 4-byte Folded Spill
	s_nop 0
	buffer_store_dword v97, off, s[28:31], 0 offset:632 ; 4-byte Folded Spill
	buffer_store_dword v98, off, s[28:31], 0 offset:636 ; 4-byte Folded Spill
	buffer_store_dword v99, off, s[28:31], 0 offset:640 ; 4-byte Folded Spill
	buffer_load_dwordx4 v[224:227], v70, s[4:7], 0 offen offset:1088
	buffer_load_dwordx4 v[210:213], v70, s[4:7], 0 offen offset:1024
	v_mfma_f64_16x16x4f64 v[10:17], v[180:181], v[124:125], v[10:17]
	buffer_load_dwordx4 v[96:99], v70, s[4:7], 0 offen offset:1040
	v_mfma_f64_16x16x4f64 v[2:9], v[228:229], v[134:135], v[2:9]
	v_mfma_f64_16x16x4f64 v[10:17], v[174:175], v[118:119], v[10:17]
	;; [unrolled: 1-line block ×6, first 2 shown]
	buffer_load_dword v108, off, s[28:31], 0 offset:224 ; 4-byte Folded Reload
	buffer_load_dword v109, off, s[28:31], 0 offset:228 ; 4-byte Folded Reload
	;; [unrolled: 1-line block ×4, first 2 shown]
	s_waitcnt vmcnt(2)
	v_mfma_f64_16x16x4f64 v[10:17], v[154:155], v[108:109], v[10:17]
	s_waitcnt vmcnt(0)
	v_mfma_f64_16x16x4f64 v[10:17], v[156:157], v[110:111], v[10:17]
	v_mfma_f64_16x16x4f64 v[50:57], v[190:191], v[100:101], v[50:57]
	;; [unrolled: 1-line block ×3, first 2 shown]
	buffer_load_dword v100, off, s[28:31], 0 offset:208 ; 4-byte Folded Reload
	buffer_load_dword v101, off, s[28:31], 0 offset:212 ; 4-byte Folded Reload
	;; [unrolled: 1-line block ×4, first 2 shown]
	s_waitcnt vmcnt(2)
	v_mfma_f64_16x16x4f64 v[10:17], v[150:151], v[100:101], v[10:17]
	s_waitcnt vmcnt(0)
	v_mfma_f64_16x16x4f64 v[10:17], v[152:153], v[102:103], v[10:17]
	v_mfma_f64_16x16x4f64 v[50:57], v[170:171], v[92:93], v[50:57]
	; sched_group_barrier mask(0x00000008) size(3) SyncID(0)
	; sched_group_barrier mask(0x00000020) size(1) SyncID(0)
	;; [unrolled: 1-line block ×8, first 2 shown]
	v_mfma_f64_16x16x4f64 v[10:17], v[114:115], v[104:105], v[10:17]
	v_mfma_f64_16x16x4f64 v[50:57], v[172:173], v[94:95], v[50:57]
	buffer_load_dwordx4 v[92:95], v70, s[4:7], 0 offen offset:1056
	v_mfma_f64_16x16x4f64 v[10:17], v[116:117], v[106:107], v[10:17]
	v_mfma_f64_16x16x4f64 v[50:57], v[166:167], v[86:87], v[50:57]
	;; [unrolled: 1-line block ×5, first 2 shown]
	; sched_group_barrier mask(0x00000008) size(3) SyncID(0)
	; sched_group_barrier mask(0x00000020) size(1) SyncID(0)
	v_mfma_f64_16x16x4f64 v[10:17], v[230:231], v[84:85], v[10:17]
	v_mfma_f64_16x16x4f64 v[50:57], v[66:67], v[138:139], v[50:57]
	;; [unrolled: 1-line block ×12, first 2 shown]
	buffer_load_dwordx4 v[100:103], v70, s[4:7], 0 offen offset:1072
	s_waitcnt lgkmcnt(0)
	s_barrier
	buffer_load_dword v1, off, s[28:31], 0 offset:272 ; 4-byte Folded Reload
	buffer_load_dword v88, off, s[28:31], 0 offset:692 ; 4-byte Folded Reload
	;; [unrolled: 1-line block ×4, first 2 shown]
	v_mfma_f64_16x16x4f64 v[58:65], v[66:67], v[104:105], v[58:65]
	buffer_load_dword v66, off, s[28:31], 0 offset:700 ; 4-byte Folded Reload
	buffer_load_dword v67, off, s[28:31], 0 offset:720 ; 4-byte Folded Reload
	buffer_load_dword v70, off, s[28:31], 0 offset:680 ; 4-byte Folded Reload
	buffer_load_dword v142, off, s[28:31], 0 offset:644 ; 4-byte Folded Reload
	buffer_load_dword v143, off, s[28:31], 0 offset:648 ; 4-byte Folded Reload
	buffer_load_dword v144, off, s[28:31], 0 offset:652 ; 4-byte Folded Reload
	buffer_load_dword v145, off, s[28:31], 0 offset:656 ; 4-byte Folded Reload
	v_mfma_f64_16x16x4f64 v[58:65], v[68:69], v[106:107], v[58:65]
	buffer_load_dword v68, off, s[28:31], 0 offset:724 ; 4-byte Folded Reload
	buffer_load_dword v69, off, s[28:31], 0 offset:736 ; 4-byte Folded Reload
	; sched_group_barrier mask(0x00000008) size(3) SyncID(0)
	; sched_group_barrier mask(0x00000020) size(1) SyncID(0)
	;; [unrolled: 1-line block ×31, first 2 shown]
	v_mfma_f64_16x16x4f64 v[58:65], v[238:239], v[82:83], v[58:65]
	v_mfma_f64_16x16x4f64 v[58:65], v[240:241], v[84:85], v[58:65]
	s_waitcnt vmcnt(12)
	v_xor_b32_e32 v203, v255, v1
	buffer_load_dword v1, off, s[28:31], 0 offset:664 ; 4-byte Folded Reload
	s_waitcnt vmcnt(9)
	v_add_u32_e32 v66, v88, v66
	ds_read_b128 v[122:125], v66 offset:57344
	ds_read_b128 v[108:111], v66 offset:57360
	;; [unrolled: 1-line block ×4, first 2 shown]
	buffer_load_dword v78, off, s[28:31], 0 offset:688 ; 4-byte Folded Reload
	s_waitcnt vmcnt(9)
	v_add_u32_e32 v67, v88, v67
	; sched_group_barrier mask(0x00000100) size(2) SyncID(0)
	; sched_group_barrier mask(0x00000008) size(1) SyncID(0)
	s_waitcnt vmcnt(3)
	v_add_u32_e32 v68, v88, v68
	s_waitcnt vmcnt(2)
	v_add_u32_e32 v69, v88, v69
	s_waitcnt vmcnt(1)
	v_sub_u32_e32 v66, v203, v1
	buffer_load_dword v1, off, s[28:31], 0 offset:660 ; 4-byte Folded Reload
	v_lshlrev_b32_e32 v66, 2, v66
	v_add3_u32 v199, v79, v218, v66
	buffer_load_dword v79, off, s[28:31], 0 offset:744 ; 4-byte Folded Reload
	s_waitcnt vmcnt(2)
	v_add_u32_e32 v78, v88, v78
	ds_read_b128 v[104:107], v78 offset:40960
	s_waitcnt lgkmcnt(0)
	buffer_store_dword v104, off, s[28:31], 0 offset:16 ; 4-byte Folded Spill
	s_nop 0
	buffer_store_dword v105, off, s[28:31], 0 offset:20 ; 4-byte Folded Spill
	buffer_store_dword v106, off, s[28:31], 0 offset:24 ; 4-byte Folded Spill
	;; [unrolled: 1-line block ×3, first 2 shown]
	ds_read_b128 v[104:107], v78 offset:40976
	buffer_load_dword v78, off, s[28:31], 0 offset:696 ; 4-byte Folded Reload
	s_waitcnt vmcnt(6)
	v_add3_u32 v200, v1, v218, v66
	buffer_load_dword v66, off, s[28:31], 0 offset:716 ; 4-byte Folded Reload
	s_waitcnt vmcnt(6)
	v_add_u32_e32 v79, v88, v79
	s_waitcnt lgkmcnt(0)
	buffer_store_dword v104, off, s[28:31], 0 ; 4-byte Folded Spill
	ds_read_b128 v[162:165], v79 offset:57344
	buffer_store_dword v105, off, s[28:31], 0 offset:4 ; 4-byte Folded Spill
	buffer_store_dword v106, off, s[28:31], 0 offset:8 ; 4-byte Folded Spill
	;; [unrolled: 1-line block ×3, first 2 shown]
	ds_read_b128 v[146:149], v79 offset:57360
	buffer_load_dword v79, off, s[28:31], 0 offset:752 ; 4-byte Folded Reload
	s_waitcnt vmcnt(6)
	v_add_u32_e32 v78, v88, v78
	ds_read_b128 v[104:107], v78 offset:49152
	s_waitcnt lgkmcnt(0)
	buffer_store_dword v104, off, s[28:31], 0 offset:96 ; 4-byte Folded Spill
	s_nop 0
	buffer_store_dword v105, off, s[28:31], 0 offset:100 ; 4-byte Folded Spill
	buffer_store_dword v106, off, s[28:31], 0 offset:104 ; 4-byte Folded Spill
	;; [unrolled: 1-line block ×3, first 2 shown]
	ds_read_b128 v[104:107], v78 offset:49168
	buffer_load_dword v78, off, s[28:31], 0 offset:740 ; 4-byte Folded Reload
	ds_read_b128 v[118:121], v88 offset:32768
	ds_read_b128 v[220:223], v88 offset:32784
	ds_read_b128 v[74:77], v70
	s_waitcnt lgkmcnt(3)
	buffer_store_dword v104, off, s[28:31], 0 offset:32 ; 4-byte Folded Spill
	ds_read_b128 v[70:73], v70 offset:16
	buffer_store_dword v106, off, s[28:31], 0 offset:40 ; 4-byte Folded Spill
	buffer_store_dword v107, off, s[28:31], 0 offset:44 ; 4-byte Folded Spill
	v_add_u32_e32 v106, v88, v89
	buffer_load_dword v89, off, s[28:31], 0 offset:764 ; 4-byte Folded Reload
	ds_read_b128 v[138:141], v106 offset:40960
	buffer_store_dword v105, off, s[28:31], 0 offset:36 ; 4-byte Folded Spill
	ds_read_b128 v[134:137], v106 offset:40976
	; sched_group_barrier mask(0x00000100) size(2) SyncID(0)
	; sched_group_barrier mask(0x00000008) size(1) SyncID(0)
	;; [unrolled: 1-line block ×10, first 2 shown]
	s_waitcnt vmcnt(15)
	v_add_u32_e32 v66, v88, v66
	ds_read_b128 v[80:83], v66 offset:40960
	s_waitcnt lgkmcnt(0)
	buffer_store_dword v80, off, s[28:31], 0 offset:192 ; 4-byte Folded Spill
	s_nop 0
	buffer_store_dword v81, off, s[28:31], 0 offset:196 ; 4-byte Folded Spill
	buffer_store_dword v82, off, s[28:31], 0 offset:200 ; 4-byte Folded Spill
	;; [unrolled: 1-line block ×3, first 2 shown]
	ds_read_b128 v[80:83], v66 offset:40976
	s_waitcnt vmcnt(14)
	ds_read_b128 v[114:117], v79 offset:16384
	ds_read_b128 v[228:231], v79 offset:16400
	s_waitcnt lgkmcnt(2)
	buffer_store_dword v80, off, s[28:31], 0 offset:176 ; 4-byte Folded Spill
	s_nop 0
	buffer_store_dword v81, off, s[28:31], 0 offset:180 ; 4-byte Folded Spill
	buffer_store_dword v82, off, s[28:31], 0 offset:184 ; 4-byte Folded Spill
	;; [unrolled: 1-line block ×3, first 2 shown]
	ds_read_b128 v[80:83], v67 offset:49152
	s_waitcnt lgkmcnt(0)
	buffer_store_dword v80, off, s[28:31], 0 offset:160 ; 4-byte Folded Spill
	s_nop 0
	buffer_store_dword v81, off, s[28:31], 0 offset:164 ; 4-byte Folded Spill
	buffer_store_dword v82, off, s[28:31], 0 offset:168 ; 4-byte Folded Spill
	;; [unrolled: 1-line block ×3, first 2 shown]
	ds_read_b128 v[80:83], v67 offset:49168
	s_waitcnt vmcnt(17)
	v_add_u32_e32 v78, v88, v78
	ds_read_b128 v[158:161], v78 offset:49168
	s_waitcnt lgkmcnt(1)
	buffer_store_dword v80, off, s[28:31], 0 offset:128 ; 4-byte Folded Spill
	s_nop 0
	buffer_store_dword v81, off, s[28:31], 0 offset:132 ; 4-byte Folded Spill
	buffer_store_dword v82, off, s[28:31], 0 offset:136 ; 4-byte Folded Spill
	;; [unrolled: 1-line block ×3, first 2 shown]
	ds_read_b128 v[80:83], v68 offset:57344
	s_waitcnt vmcnt(17)
	v_add_u32_e32 v90, v88, v89
	buffer_load_dword v89, off, s[28:31], 0 offset:768 ; 4-byte Folded Reload
	ds_read_b128 v[186:189], v90 offset:49152
	ds_read_b128 v[126:129], v90 offset:49168
	s_waitcnt lgkmcnt(2)
	buffer_store_dword v80, off, s[28:31], 0 offset:144 ; 4-byte Folded Spill
	s_waitcnt vmcnt(1)
	v_add_u32_e32 v107, v88, v89
	buffer_store_dword v81, off, s[28:31], 0 offset:148 ; 4-byte Folded Spill
	buffer_store_dword v82, off, s[28:31], 0 offset:152 ; 4-byte Folded Spill
	;; [unrolled: 1-line block ×3, first 2 shown]
	ds_read_b128 v[80:83], v68 offset:57360
	ds_read_b128 v[182:185], v107 offset:57344
	;; [unrolled: 1-line block ×3, first 2 shown]
	s_waitcnt lgkmcnt(2)
	buffer_store_dword v80, off, s[28:31], 0 offset:112 ; 4-byte Folded Spill
	s_nop 0
	buffer_store_dword v81, off, s[28:31], 0 offset:116 ; 4-byte Folded Spill
	buffer_store_dword v82, off, s[28:31], 0 offset:120 ; 4-byte Folded Spill
	;; [unrolled: 1-line block ×3, first 2 shown]
	ds_read_b128 v[80:83], v69 offset:40960
	ds_read_b128 v[66:69], v69 offset:40976
	s_waitcnt lgkmcnt(1)
	buffer_store_dword v80, off, s[28:31], 0 offset:80 ; 4-byte Folded Spill
	s_waitcnt lgkmcnt(0)
	buffer_store_dword v66, off, s[28:31], 0 offset:48 ; 4-byte Folded Spill
	s_nop 0
	buffer_store_dword v67, off, s[28:31], 0 offset:52 ; 4-byte Folded Spill
	buffer_store_dword v68, off, s[28:31], 0 offset:56 ; 4-byte Folded Spill
	;; [unrolled: 1-line block ×3, first 2 shown]
	ds_read_b128 v[66:69], v78 offset:49152
	buffer_load_dword v78, off, s[28:31], 0 offset:748 ; 4-byte Folded Reload
	s_waitcnt vmcnt(0)
	ds_read_b128 v[238:241], v78 offset:16
	s_waitcnt lgkmcnt(1)
	buffer_store_dword v66, off, s[28:31], 0 offset:64 ; 4-byte Folded Spill
	s_nop 0
	buffer_store_dword v69, off, s[28:31], 0 offset:76 ; 4-byte Folded Spill
	buffer_load_dword v66, off, s[28:31], 0 offset:708 ; 4-byte Folded Reload
	s_waitcnt vmcnt(0)
	ds_read_b128 v[194:197], v66
	ds_read_b128 v[190:193], v66 offset:16
	buffer_load_dword v66, off, s[28:31], 0 offset:712 ; 4-byte Folded Reload
	s_waitcnt vmcnt(0)
	ds_read_b128 v[178:181], v66 offset:16384
	ds_read_b128 v[174:177], v66 offset:16400
	buffer_load_dword v66, off, s[28:31], 0 offset:704 ; 4-byte Folded Reload
	s_waitcnt vmcnt(0)
	ds_read_b128 v[84:87], v66 offset:32768
	buffer_store_dword v67, off, s[28:31], 0 offset:68 ; 4-byte Folded Spill
	buffer_store_dword v68, off, s[28:31], 0 offset:72 ; 4-byte Folded Spill
	ds_read_b128 v[66:69], v66 offset:32784
	buffer_store_dword v81, off, s[28:31], 0 offset:84 ; 4-byte Folded Spill
	s_waitcnt lgkmcnt(1)
	buffer_store_dword v84, off, s[28:31], 0 offset:256 ; 4-byte Folded Spill
	s_nop 0
	buffer_store_dword v85, off, s[28:31], 0 offset:260 ; 4-byte Folded Spill
	s_waitcnt lgkmcnt(0)
	buffer_store_dword v66, off, s[28:31], 0 offset:240 ; 4-byte Folded Spill
	s_nop 0
	buffer_store_dword v69, off, s[28:31], 0 offset:252 ; 4-byte Folded Spill
	buffer_load_dword v66, off, s[28:31], 0 offset:728 ; 4-byte Folded Reload
	s_waitcnt vmcnt(0)
	ds_read_b128 v[170:173], v66
	ds_read_b128 v[166:169], v66 offset:16
	buffer_load_dword v66, off, s[28:31], 0 offset:732 ; 4-byte Folded Reload
	s_waitcnt vmcnt(0)
	ds_read_b128 v[154:157], v66 offset:16384
	buffer_store_dword v67, off, s[28:31], 0 offset:244 ; 4-byte Folded Spill
	buffer_load_dword v67, off, s[28:31], 0 offset:780 ; 4-byte Folded Reload
	ds_read_b128 v[150:153], v66 offset:16400
	buffer_load_dword v66, off, s[28:31], 0 offset:756 ; 4-byte Folded Reload
	s_waitcnt vmcnt(0)
	ds_read_b128 v[104:107], v66 offset:32768
	buffer_store_dword v86, off, s[28:31], 0 offset:264 ; 4-byte Folded Spill
	buffer_store_dword v87, off, s[28:31], 0 offset:268 ; 4-byte Folded Spill
	ds_read_b128 v[84:87], v67 offset:32768
	buffer_store_dword v82, off, s[28:31], 0 offset:88 ; 4-byte Folded Spill
	buffer_store_dword v83, off, s[28:31], 0 offset:92 ; 4-byte Folded Spill
	v_pk_mov_b32 v[80:81], v[204:205], v[204:205] op_sel:[0,1]
	v_pk_mov_b32 v[82:83], v[206:207], v[206:207] op_sel:[0,1]
	;; [unrolled: 1-line block ×3, first 2 shown]
	s_waitcnt lgkmcnt(0)
	buffer_store_dword v84, off, s[28:31], 0 offset:224 ; 4-byte Folded Spill
	v_pk_mov_b32 v[208:209], v[244:245], v[244:245] op_sel:[0,1]
	buffer_store_dword v68, off, s[28:31], 0 offset:248 ; 4-byte Folded Spill
	buffer_store_dword v85, off, s[28:31], 0 offset:228 ; 4-byte Folded Spill
	buffer_store_dword v86, off, s[28:31], 0 offset:232 ; 4-byte Folded Spill
	buffer_store_dword v87, off, s[28:31], 0 offset:236 ; 4-byte Folded Spill
	ds_read_b128 v[84:87], v67 offset:32784
	ds_read_b128 v[242:245], v66 offset:32784
	ds_read_b128 v[66:69], v78
	s_waitcnt lgkmcnt(2)
	buffer_store_dword v84, off, s[28:31], 0 offset:208 ; 4-byte Folded Spill
	s_nop 0
	buffer_store_dword v85, off, s[28:31], 0 offset:212 ; 4-byte Folded Spill
	buffer_store_dword v86, off, s[28:31], 0 offset:216 ; 4-byte Folded Spill
	;; [unrolled: 1-line block ×3, first 2 shown]
	; sched_barrier mask(0x00000000)
	buffer_load_dword v78, off, s[28:31], 0 offset:784 ; 4-byte Folded Reload
	s_add_i32 s15, s15, -1
	v_add_u32_e32 v112, 0x200, v112
	v_add_u32_e32 v91, 0x200, v91
	;; [unrolled: 1-line block ×3, first 2 shown]
	s_cmp_lg_u32 s15, 0
	v_add_u32_e32 v88, 0x200, v217
	s_waitcnt vmcnt(0)
	v_add_u32_e32 v0, v0, v78
	s_cbranch_scc1 .LBB1_11
; %bb.12:
	buffer_load_dword v82, off, s[28:31], 0 offset:16 ; 4-byte Folded Reload
	buffer_load_dword v83, off, s[28:31], 0 offset:20 ; 4-byte Folded Reload
	;; [unrolled: 1-line block ×4, first 2 shown]
	buffer_load_dword v78, off, s[28:31], 0 ; 4-byte Folded Reload
	buffer_load_dword v79, off, s[28:31], 0 offset:4 ; 4-byte Folded Reload
	buffer_load_dword v80, off, s[28:31], 0 offset:8 ; 4-byte Folded Reload
	buffer_load_dword v81, off, s[28:31], 0 offset:12 ; 4-byte Folded Reload
	buffer_load_dword v86, off, s[28:31], 0 offset:96 ; 4-byte Folded Reload
	buffer_load_dword v87, off, s[28:31], 0 offset:100 ; 4-byte Folded Reload
	buffer_load_dword v88, off, s[28:31], 0 offset:104 ; 4-byte Folded Reload
	buffer_load_dword v89, off, s[28:31], 0 offset:108 ; 4-byte Folded Reload
	v_pk_mov_b32 v[90:91], v[118:119], v[118:119] op_sel:[0,1]
	v_pk_mov_b32 v[92:93], v[120:121], v[120:121] op_sel:[0,1]
	;; [unrolled: 1-line block ×4, first 2 shown]
	buffer_load_dword v220, off, s[28:31], 0 offset:32 ; 4-byte Folded Reload
	buffer_load_dword v221, off, s[28:31], 0 offset:36 ; 4-byte Folded Reload
	;; [unrolled: 1-line block ×4, first 2 shown]
	v_mfma_f64_16x16x4f64 v[58:65], v[74:75], v[90:91], v[58:65]
	buffer_load_dword v98, off, s[28:31], 0 offset:256 ; 4-byte Folded Reload
	buffer_load_dword v99, off, s[28:31], 0 offset:260 ; 4-byte Folded Reload
	buffer_load_dword v100, off, s[28:31], 0 offset:264 ; 4-byte Folded Reload
	buffer_load_dword v101, off, s[28:31], 0 offset:268 ; 4-byte Folded Reload
	buffer_load_dword v94, off, s[28:31], 0 offset:240 ; 4-byte Folded Reload
	buffer_load_dword v95, off, s[28:31], 0 offset:244 ; 4-byte Folded Reload
	buffer_load_dword v96, off, s[28:31], 0 offset:248 ; 4-byte Folded Reload
	buffer_load_dword v97, off, s[28:31], 0 offset:252 ; 4-byte Folded Reload
	s_ashr_i32 s11, s10, 31
	v_mfma_f64_16x16x4f64 v[34:41], v[74:75], v[122:123], v[34:41]
	s_lshl_b64 s[0:1], s[10:11], 3
	s_add_u32 s20, s8, s0
	s_addc_u32 s24, s9, s1
	v_mfma_f64_16x16x4f64 v[10:17], v[250:251], v[90:91], v[10:17]
	v_mfma_f64_16x16x4f64 v[58:65], v[76:77], v[92:93], v[58:65]
	;; [unrolled: 1-line block ×5, first 2 shown]
	buffer_load_dword v90, off, s[28:31], 0 offset:192 ; 4-byte Folded Reload
	buffer_load_dword v91, off, s[28:31], 0 offset:196 ; 4-byte Folded Reload
	;; [unrolled: 1-line block ×4, first 2 shown]
	v_mfma_f64_16x16x4f64 v[58:65], v[70:71], v[118:119], v[58:65]
	v_mfma_f64_16x16x4f64 v[18:25], v[252:253], v[124:125], v[18:25]
	;; [unrolled: 1-line block ×9, first 2 shown]
	s_waitcnt vmcnt(26)
	v_mfma_f64_16x16x4f64 v[50:57], v[74:75], v[82:83], v[50:57]
	v_mfma_f64_16x16x4f64 v[2:9], v[250:251], v[82:83], v[2:9]
	s_waitcnt vmcnt(18)
	v_mfma_f64_16x16x4f64 v[42:49], v[74:75], v[86:87], v[42:49]
	v_mfma_f64_16x16x4f64 v[26:33], v[250:251], v[86:87], v[26:33]
	v_mfma_f64_16x16x4f64 v[50:57], v[76:77], v[84:85], v[50:57]
	v_mfma_f64_16x16x4f64 v[2:9], v[252:253], v[84:85], v[2:9]
	s_waitcnt vmcnt(16)
	v_mfma_f64_16x16x4f64 v[42:49], v[76:77], v[88:89], v[42:49]
	v_mfma_f64_16x16x4f64 v[26:33], v[252:253], v[88:89], v[26:33]
	buffer_load_dword v86, off, s[28:31], 0 offset:176 ; 4-byte Folded Reload
	buffer_load_dword v87, off, s[28:31], 0 offset:180 ; 4-byte Folded Reload
	;; [unrolled: 1-line block ×12, first 2 shown]
	s_waitcnt vmcnt(22)
	v_mfma_f64_16x16x4f64 v[58:65], v[194:195], v[98:99], v[58:65]
	v_mfma_f64_16x16x4f64 v[50:57], v[70:71], v[78:79], v[50:57]
	;; [unrolled: 1-line block ×6, first 2 shown]
	s_waitcnt vmcnt(20)
	v_mfma_f64_16x16x4f64 v[58:65], v[196:197], v[100:101], v[58:65]
	v_mfma_f64_16x16x4f64 v[50:57], v[72:73], v[80:81], v[50:57]
	;; [unrolled: 1-line block ×3, first 2 shown]
	buffer_load_dword v78, off, s[28:31], 0 offset:144 ; 4-byte Folded Reload
	buffer_load_dword v79, off, s[28:31], 0 offset:148 ; 4-byte Folded Reload
	;; [unrolled: 1-line block ×4, first 2 shown]
	v_mfma_f64_16x16x4f64 v[42:49], v[72:73], v[222:223], v[42:49]
	buffer_load_dword v70, off, s[28:31], 0 offset:112 ; 4-byte Folded Reload
	buffer_load_dword v71, off, s[28:31], 0 offset:116 ; 4-byte Folded Reload
	;; [unrolled: 1-line block ×4, first 2 shown]
	v_mfma_f64_16x16x4f64 v[26:33], v[248:249], v[222:223], v[26:33]
	v_mfma_f64_16x16x4f64 v[10:17], v[180:181], v[100:101], v[10:17]
	s_waitcnt vmcnt(26)
	v_mfma_f64_16x16x4f64 v[58:65], v[190:191], v[94:95], v[58:65]
	s_waitcnt vmcnt(22)
	v_mfma_f64_16x16x4f64 v[50:57], v[194:195], v[90:91], v[50:57]
	v_mfma_f64_16x16x4f64 v[2:9], v[178:179], v[90:91], v[2:9]
	;; [unrolled: 1-line block ×4, first 2 shown]
	s_waitcnt vmcnt(20)
	v_mfma_f64_16x16x4f64 v[50:57], v[196:197], v[92:93], v[50:57]
	v_mfma_f64_16x16x4f64 v[2:9], v[180:181], v[92:93], v[2:9]
	;; [unrolled: 1-line block ×3, first 2 shown]
	s_waitcnt vmcnt(18)
	v_mfma_f64_16x16x4f64 v[50:57], v[190:191], v[86:87], v[50:57]
	s_waitcnt vmcnt(14)
	v_mfma_f64_16x16x4f64 v[42:49], v[194:195], v[82:83], v[42:49]
	v_mfma_f64_16x16x4f64 v[26:33], v[178:179], v[82:83], v[26:33]
	;; [unrolled: 1-line block ×4, first 2 shown]
	s_waitcnt vmcnt(12)
	v_mfma_f64_16x16x4f64 v[42:49], v[196:197], v[84:85], v[42:49]
	v_mfma_f64_16x16x4f64 v[26:33], v[180:181], v[84:85], v[26:33]
	;; [unrolled: 1-line block ×3, first 2 shown]
	buffer_load_dword v86, off, s[28:31], 0 offset:224 ; 4-byte Folded Reload
	buffer_load_dword v87, off, s[28:31], 0 offset:228 ; 4-byte Folded Reload
	;; [unrolled: 1-line block ×8, first 2 shown]
	s_waitcnt vmcnt(14)
	v_mfma_f64_16x16x4f64 v[34:41], v[194:195], v[78:79], v[34:41]
	v_mfma_f64_16x16x4f64 v[18:25], v[178:179], v[78:79], v[18:25]
	;; [unrolled: 1-line block ×4, first 2 shown]
	s_waitcnt vmcnt(12)
	v_mfma_f64_16x16x4f64 v[34:41], v[196:197], v[80:81], v[34:41]
	v_mfma_f64_16x16x4f64 v[18:25], v[180:181], v[80:81], v[18:25]
	buffer_load_dword v78, off, s[28:31], 0 offset:80 ; 4-byte Folded Reload
	buffer_load_dword v79, off, s[28:31], 0 offset:84 ; 4-byte Folded Reload
	;; [unrolled: 1-line block ×4, first 2 shown]
	v_mfma_f64_16x16x4f64 v[42:49], v[192:193], v[76:77], v[42:49]
	v_mfma_f64_16x16x4f64 v[26:33], v[176:177], v[76:77], v[26:33]
	s_waitcnt vmcnt(14)
	v_mfma_f64_16x16x4f64 v[34:41], v[190:191], v[70:71], v[34:41]
	v_mfma_f64_16x16x4f64 v[18:25], v[174:175], v[70:71], v[18:25]
	s_waitcnt vmcnt(12)
	v_mfma_f64_16x16x4f64 v[34:41], v[192:193], v[72:73], v[34:41]
	v_mfma_f64_16x16x4f64 v[18:25], v[176:177], v[72:73], v[18:25]
	buffer_load_dword v70, off, s[28:31], 0 offset:48 ; 4-byte Folded Reload
	buffer_load_dword v71, off, s[28:31], 0 offset:52 ; 4-byte Folded Reload
	;; [unrolled: 1-line block ×8, first 2 shown]
	v_mfma_f64_16x16x4f64 v[34:41], v[170:171], v[162:163], v[34:41]
	v_mfma_f64_16x16x4f64 v[18:25], v[154:155], v[162:163], v[18:25]
	v_mfma_f64_16x16x4f64 v[34:41], v[172:173], v[164:165], v[34:41]
	v_mfma_f64_16x16x4f64 v[18:25], v[156:157], v[164:165], v[18:25]
	v_mfma_f64_16x16x4f64 v[34:41], v[166:167], v[146:147], v[34:41]
	v_mfma_f64_16x16x4f64 v[18:25], v[150:151], v[146:147], v[18:25]
	v_mfma_f64_16x16x4f64 v[34:41], v[168:169], v[148:149], v[34:41]
	v_mfma_f64_16x16x4f64 v[18:25], v[152:153], v[148:149], v[18:25]
	s_waitcnt lgkmcnt(0)
	v_mfma_f64_16x16x4f64 v[34:41], v[66:67], v[182:183], v[34:41]
	v_mfma_f64_16x16x4f64 v[18:25], v[114:115], v[182:183], v[18:25]
	v_mfma_f64_16x16x4f64 v[34:41], v[68:69], v[184:185], v[34:41]
	v_mfma_f64_16x16x4f64 v[18:25], v[116:117], v[184:185], v[18:25]
	s_waitcnt vmcnt(18)
	v_mfma_f64_16x16x4f64 v[58:65], v[170:171], v[86:87], v[58:65]
	v_mfma_f64_16x16x4f64 v[10:17], v[154:155], v[86:87], v[10:17]
	v_mfma_f64_16x16x4f64 v[34:41], v[238:239], v[130:131], v[34:41]
	v_mfma_f64_16x16x4f64 v[18:25], v[228:229], v[130:131], v[18:25]
	s_waitcnt vmcnt(16)
	;; [unrolled: 5-line block ×5, first 2 shown]
	v_mfma_f64_16x16x4f64 v[50:57], v[166:167], v[70:71], v[50:57]
	s_waitcnt vmcnt(2)
	v_mfma_f64_16x16x4f64 v[42:49], v[170:171], v[74:75], v[42:49]
	v_mfma_f64_16x16x4f64 v[26:33], v[154:155], v[74:75], v[26:33]
	;; [unrolled: 1-line block ×6, first 2 shown]
	s_waitcnt vmcnt(0)
	v_mfma_f64_16x16x4f64 v[42:49], v[172:173], v[76:77], v[42:49]
	v_mfma_f64_16x16x4f64 v[26:33], v[156:157], v[76:77], v[26:33]
	;; [unrolled: 1-line block ×19, first 2 shown]
	buffer_load_dword v66, off, s[28:31], 0 offset:788 ; 4-byte Folded Reload
	buffer_load_dword v67, off, s[28:31], 0 offset:796 ; 4-byte Folded Reload
	v_mfma_f64_16x16x4f64 v[26:33], v[114:115], v[186:187], v[26:33]
	v_mfma_f64_16x16x4f64 v[2:9], v[228:229], v[134:135], v[2:9]
	;; [unrolled: 1-line block ×10, first 2 shown]
	s_waitcnt vmcnt(1)
	v_lshlrev_b32_e32 v0, 3, v66
	v_lshlrev_b32_e32 v66, 1, v66
	v_and_b32_e32 v1, 0x200, v0
	v_and_b32_e32 v66, 0x60, v66
	s_waitcnt vmcnt(0)
	v_or3_b32 v67, v66, v1, v67
	buffer_load_dword v1, off, s[28:31], 0 offset:792 ; 4-byte Folded Reload
	s_waitcnt lgkmcnt(0)
	s_barrier
	v_and_b32_e32 v0, 24, v0
	v_or_b32_e32 v66, s13, v0
	v_cmp_gt_i32_e32 vcc, s17, v66
	s_waitcnt vmcnt(0)
	v_lshl_or_b32 v68, s12, 6, v1
	v_lshl_or_b32 v69, v1, 5, v0
	v_mad_u64_u32 v[0:1], s[0:1], v68, s21, v[66:67]
	v_lshlrev_b32_e32 v67, 3, v67
	v_add_u32_e32 v1, 0x800, v67
	ds_write2_b64 v1, v[64:65], v[56:57] offset0:128 offset1:144
	ds_write2_b64 v1, v[62:63], v[54:55] offset1:16
	ds_write2_b64 v67, v[60:61], v[52:53] offset0:128 offset1:144
	ds_write2_b64 v67, v[58:59], v[50:51] offset1:16
	s_waitcnt lgkmcnt(0)
	s_barrier
	v_cmp_gt_i32_e64 s[6:7], s16, v68
	s_and_b64 s[0:1], s[6:7], vcc
	v_ashrrev_i32_e32 v1, 31, v0
	v_lshlrev_b32_e32 v60, 3, v69
	s_and_saveexec_b64 s[2:3], s[0:1]
	s_cbranch_execz .LBB1_17
; %bb.13:
	v_lshlrev_b64 v[50:51], 3, v[0:1]
	v_mov_b32_e32 v52, s24
	v_add_co_u32_e64 v58, s[0:1], s20, v50
	v_addc_co_u32_e64 v59, s[0:1], v52, v51, s[0:1]
	global_load_dwordx2 v[56:57], v[58:59], off
	ds_read_b128 v[50:53], v60
	s_mov_b64 s[4:5], 0
.LBB1_14:                               ; =>This Inner Loop Header: Depth=1
	s_waitcnt vmcnt(0) lgkmcnt(0)
	v_add_f64 v[54:55], v[56:57], v[50:51]
	global_atomic_cmpswap_x2 v[54:55], v[58:59], v[54:57], off glc
	s_waitcnt vmcnt(0)
	v_cmp_eq_u64_e64 s[0:1], v[54:55], v[56:57]
	s_or_b64 s[4:5], s[0:1], s[4:5]
	v_pk_mov_b32 v[56:57], v[54:55], v[54:55] op_sel:[0,1]
	s_andn2_b64 exec, exec, s[4:5]
	s_cbranch_execnz .LBB1_14
; %bb.15:
	s_or_b64 exec, exec, s[4:5]
	global_load_dwordx2 v[56:57], v[58:59], off offset:8
	s_mov_b64 s[4:5], 0
.LBB1_16:                               ; =>This Inner Loop Header: Depth=1
	s_waitcnt vmcnt(0)
	v_add_f64 v[54:55], v[56:57], v[52:53]
	global_atomic_cmpswap_x2 v[50:51], v[58:59], v[54:57], off offset:8 glc
	s_waitcnt vmcnt(0)
	v_cmp_eq_u64_e64 s[0:1], v[50:51], v[56:57]
	s_or_b64 s[4:5], s[0:1], s[4:5]
	v_pk_mov_b32 v[56:57], v[50:51], v[50:51] op_sel:[0,1]
	s_andn2_b64 exec, exec, s[4:5]
	s_cbranch_execnz .LBB1_16
.LBB1_17:
	s_or_b64 exec, exec, s[2:3]
	v_or_b32_e32 v50, 2, v66
	v_cmp_gt_i32_e64 s[0:1], s17, v50
	s_and_b64 s[2:3], s[6:7], s[0:1]
	s_and_saveexec_b64 s[4:5], s[2:3]
	s_cbranch_execz .LBB1_22
; %bb.18:
	v_lshlrev_b64 v[50:51], 3, v[0:1]
	v_mov_b32_e32 v52, s24
	v_add_co_u32_e64 v58, s[2:3], s20, v50
	v_addc_co_u32_e64 v59, s[2:3], v52, v51, s[2:3]
	global_load_dwordx2 v[56:57], v[58:59], off offset:16
	ds_read_b128 v[50:53], v60 offset:16
	s_mov_b64 s[8:9], 0
.LBB1_19:                               ; =>This Inner Loop Header: Depth=1
	s_waitcnt vmcnt(0) lgkmcnt(0)
	v_add_f64 v[54:55], v[56:57], v[50:51]
	global_atomic_cmpswap_x2 v[54:55], v[58:59], v[54:57], off offset:16 glc
	s_waitcnt vmcnt(0)
	v_cmp_eq_u64_e64 s[2:3], v[54:55], v[56:57]
	s_or_b64 s[8:9], s[2:3], s[8:9]
	v_pk_mov_b32 v[56:57], v[54:55], v[54:55] op_sel:[0,1]
	s_andn2_b64 exec, exec, s[8:9]
	s_cbranch_execnz .LBB1_19
; %bb.20:
	s_or_b64 exec, exec, s[8:9]
	global_load_dwordx2 v[56:57], v[58:59], off offset:24
	s_mov_b64 s[8:9], 0
.LBB1_21:                               ; =>This Inner Loop Header: Depth=1
	s_waitcnt vmcnt(0)
	v_add_f64 v[54:55], v[56:57], v[52:53]
	global_atomic_cmpswap_x2 v[50:51], v[58:59], v[54:57], off offset:24 glc
	s_waitcnt vmcnt(0)
	v_cmp_eq_u64_e64 s[2:3], v[50:51], v[56:57]
	s_or_b64 s[8:9], s[2:3], s[8:9]
	v_pk_mov_b32 v[56:57], v[50:51], v[50:51] op_sel:[0,1]
	s_andn2_b64 exec, exec, s[8:9]
	s_cbranch_execnz .LBB1_21
.LBB1_22:
	s_or_b64 exec, exec, s[4:5]
	v_or_b32_e32 v50, 4, v66
	v_cmp_gt_i32_e64 s[2:3], s17, v50
	s_and_b64 s[4:5], s[6:7], s[2:3]
	s_and_saveexec_b64 s[8:9], s[4:5]
	s_cbranch_execz .LBB1_27
; %bb.23:
	v_lshlrev_b64 v[50:51], 3, v[0:1]
	v_mov_b32_e32 v52, s24
	v_add_co_u32_e64 v58, s[4:5], s20, v50
	v_addc_co_u32_e64 v59, s[4:5], v52, v51, s[4:5]
	global_load_dwordx2 v[56:57], v[58:59], off offset:32
	ds_read_b128 v[50:53], v60 offset:32
	s_mov_b64 s[10:11], 0
.LBB1_24:                               ; =>This Inner Loop Header: Depth=1
	s_waitcnt vmcnt(0) lgkmcnt(0)
	v_add_f64 v[54:55], v[56:57], v[50:51]
	global_atomic_cmpswap_x2 v[54:55], v[58:59], v[54:57], off offset:32 glc
	s_waitcnt vmcnt(0)
	v_cmp_eq_u64_e64 s[4:5], v[54:55], v[56:57]
	s_or_b64 s[10:11], s[4:5], s[10:11]
	v_pk_mov_b32 v[56:57], v[54:55], v[54:55] op_sel:[0,1]
	s_andn2_b64 exec, exec, s[10:11]
	s_cbranch_execnz .LBB1_24
; %bb.25:
	s_or_b64 exec, exec, s[10:11]
	global_load_dwordx2 v[56:57], v[58:59], off offset:40
	s_mov_b64 s[10:11], 0
.LBB1_26:                               ; =>This Inner Loop Header: Depth=1
	s_waitcnt vmcnt(0)
	v_add_f64 v[54:55], v[56:57], v[52:53]
	global_atomic_cmpswap_x2 v[50:51], v[58:59], v[54:57], off offset:40 glc
	s_waitcnt vmcnt(0)
	v_cmp_eq_u64_e64 s[4:5], v[50:51], v[56:57]
	s_or_b64 s[10:11], s[4:5], s[10:11]
	v_pk_mov_b32 v[56:57], v[50:51], v[50:51] op_sel:[0,1]
	s_andn2_b64 exec, exec, s[10:11]
	s_cbranch_execnz .LBB1_26
.LBB1_27:
	;; [unrolled: 39-line block ×3, first 2 shown]
	s_or_b64 exec, exec, s[10:11]
	v_or_b32_e32 v50, 32, v66
	v_cmp_gt_i32_e64 s[8:9], s17, v50
	v_add_u32_e32 v51, 0x800, v67
	s_and_b64 s[10:11], s[6:7], s[8:9]
	s_waitcnt lgkmcnt(0)
	s_barrier
	ds_write2_b64 v51, v[48:49], v[40:41] offset0:128 offset1:144
	ds_write2_b64 v51, v[46:47], v[38:39] offset1:16
	ds_write2_b64 v67, v[44:45], v[36:37] offset0:128 offset1:144
	ds_write2_b64 v67, v[42:43], v[34:35] offset1:16
	s_waitcnt lgkmcnt(0)
	s_barrier
	s_and_saveexec_b64 s[12:13], s[10:11]
	s_cbranch_execz .LBB1_37
; %bb.33:
	v_lshlrev_b64 v[34:35], 3, v[0:1]
	v_mov_b32_e32 v36, s24
	v_add_co_u32_e64 v42, s[10:11], s20, v34
	v_addc_co_u32_e64 v43, s[10:11], v36, v35, s[10:11]
	global_load_dwordx2 v[40:41], v[42:43], off offset:256
	ds_read_b128 v[34:37], v60
	s_mov_b64 s[14:15], 0
.LBB1_34:                               ; =>This Inner Loop Header: Depth=1
	s_waitcnt vmcnt(0) lgkmcnt(0)
	v_add_f64 v[38:39], v[40:41], v[34:35]
	global_atomic_cmpswap_x2 v[38:39], v[42:43], v[38:41], off offset:256 glc
	s_waitcnt vmcnt(0)
	v_cmp_eq_u64_e64 s[10:11], v[38:39], v[40:41]
	s_or_b64 s[14:15], s[10:11], s[14:15]
	v_pk_mov_b32 v[40:41], v[38:39], v[38:39] op_sel:[0,1]
	s_andn2_b64 exec, exec, s[14:15]
	s_cbranch_execnz .LBB1_34
; %bb.35:
	s_or_b64 exec, exec, s[14:15]
	global_load_dwordx2 v[40:41], v[42:43], off offset:264
	s_mov_b64 s[14:15], 0
.LBB1_36:                               ; =>This Inner Loop Header: Depth=1
	s_waitcnt vmcnt(0)
	v_add_f64 v[38:39], v[40:41], v[36:37]
	global_atomic_cmpswap_x2 v[34:35], v[42:43], v[38:41], off offset:264 glc
	s_waitcnt vmcnt(0)
	v_cmp_eq_u64_e64 s[10:11], v[34:35], v[40:41]
	s_or_b64 s[14:15], s[10:11], s[14:15]
	v_pk_mov_b32 v[40:41], v[34:35], v[34:35] op_sel:[0,1]
	s_andn2_b64 exec, exec, s[14:15]
	s_cbranch_execnz .LBB1_36
.LBB1_37:
	s_or_b64 exec, exec, s[12:13]
	v_or_b32_e32 v34, 34, v66
	v_cmp_gt_i32_e64 s[10:11], s17, v34
	s_and_b64 s[12:13], s[6:7], s[10:11]
	s_and_saveexec_b64 s[14:15], s[12:13]
	s_cbranch_execz .LBB1_42
; %bb.38:
	v_lshlrev_b64 v[34:35], 3, v[0:1]
	v_mov_b32_e32 v36, s24
	v_add_co_u32_e64 v42, s[12:13], s20, v34
	v_addc_co_u32_e64 v43, s[12:13], v36, v35, s[12:13]
	global_load_dwordx2 v[40:41], v[42:43], off offset:272
	ds_read_b128 v[34:37], v60 offset:16
	s_mov_b64 s[18:19], 0
.LBB1_39:                               ; =>This Inner Loop Header: Depth=1
	s_waitcnt vmcnt(0) lgkmcnt(0)
	v_add_f64 v[38:39], v[40:41], v[34:35]
	global_atomic_cmpswap_x2 v[38:39], v[42:43], v[38:41], off offset:272 glc
	s_waitcnt vmcnt(0)
	v_cmp_eq_u64_e64 s[12:13], v[38:39], v[40:41]
	s_or_b64 s[18:19], s[12:13], s[18:19]
	v_pk_mov_b32 v[40:41], v[38:39], v[38:39] op_sel:[0,1]
	s_andn2_b64 exec, exec, s[18:19]
	s_cbranch_execnz .LBB1_39
; %bb.40:
	s_or_b64 exec, exec, s[18:19]
	global_load_dwordx2 v[40:41], v[42:43], off offset:280
	s_mov_b64 s[18:19], 0
.LBB1_41:                               ; =>This Inner Loop Header: Depth=1
	s_waitcnt vmcnt(0)
	v_add_f64 v[38:39], v[40:41], v[36:37]
	global_atomic_cmpswap_x2 v[34:35], v[42:43], v[38:41], off offset:280 glc
	s_waitcnt vmcnt(0)
	v_cmp_eq_u64_e64 s[12:13], v[34:35], v[40:41]
	s_or_b64 s[18:19], s[12:13], s[18:19]
	v_pk_mov_b32 v[40:41], v[34:35], v[34:35] op_sel:[0,1]
	s_andn2_b64 exec, exec, s[18:19]
	s_cbranch_execnz .LBB1_41
.LBB1_42:
	s_or_b64 exec, exec, s[14:15]
	v_or_b32_e32 v34, 36, v66
	v_cmp_gt_i32_e64 s[12:13], s17, v34
	s_and_b64 s[14:15], s[6:7], s[12:13]
	s_and_saveexec_b64 s[18:19], s[14:15]
	s_cbranch_execz .LBB1_47
; %bb.43:
	v_lshlrev_b64 v[34:35], 3, v[0:1]
	v_mov_b32_e32 v36, s24
	v_add_co_u32_e64 v42, s[14:15], s20, v34
	v_addc_co_u32_e64 v43, s[14:15], v36, v35, s[14:15]
	global_load_dwordx2 v[40:41], v[42:43], off offset:288
	ds_read_b128 v[34:37], v60 offset:32
	s_mov_b64 s[22:23], 0
.LBB1_44:                               ; =>This Inner Loop Header: Depth=1
	s_waitcnt vmcnt(0) lgkmcnt(0)
	v_add_f64 v[38:39], v[40:41], v[34:35]
	global_atomic_cmpswap_x2 v[38:39], v[42:43], v[38:41], off offset:288 glc
	s_waitcnt vmcnt(0)
	v_cmp_eq_u64_e64 s[14:15], v[38:39], v[40:41]
	s_or_b64 s[22:23], s[14:15], s[22:23]
	v_pk_mov_b32 v[40:41], v[38:39], v[38:39] op_sel:[0,1]
	s_andn2_b64 exec, exec, s[22:23]
	s_cbranch_execnz .LBB1_44
; %bb.45:
	s_or_b64 exec, exec, s[22:23]
	global_load_dwordx2 v[40:41], v[42:43], off offset:296
	s_mov_b64 s[22:23], 0
.LBB1_46:                               ; =>This Inner Loop Header: Depth=1
	s_waitcnt vmcnt(0)
	v_add_f64 v[38:39], v[40:41], v[36:37]
	global_atomic_cmpswap_x2 v[34:35], v[42:43], v[38:41], off offset:296 glc
	s_waitcnt vmcnt(0)
	v_cmp_eq_u64_e64 s[14:15], v[34:35], v[40:41]
	s_or_b64 s[22:23], s[14:15], s[22:23]
	v_pk_mov_b32 v[40:41], v[34:35], v[34:35] op_sel:[0,1]
	s_andn2_b64 exec, exec, s[22:23]
	s_cbranch_execnz .LBB1_46
.LBB1_47:
	;; [unrolled: 39-line block ×3, first 2 shown]
	s_or_b64 exec, exec, s[18:19]
	v_or_b32_e32 v1, 32, v68
	s_lshl_b32 s21, s21, 5
	v_add3_u32 v34, v0, s21, 32
	v_add_u32_e32 v35, 0x800, v67
	v_cmp_gt_i32_e64 s[6:7], s16, v1
	s_waitcnt lgkmcnt(0)
	s_barrier
	ds_write2_b64 v35, v[32:33], v[24:25] offset0:128 offset1:144
	ds_write2_b64 v35, v[30:31], v[22:23] offset1:16
	ds_write2_b64 v67, v[28:29], v[20:21] offset0:128 offset1:144
	ds_write2_b64 v67, v[26:27], v[18:19] offset1:16
	s_and_b64 s[8:9], s[6:7], s[8:9]
	v_ashrrev_i32_e32 v35, 31, v34
	s_waitcnt lgkmcnt(0)
	s_barrier
	s_and_saveexec_b64 s[16:17], s[8:9]
	s_cbranch_execz .LBB1_57
; %bb.53:
	v_lshlrev_b64 v[18:19], 3, v[34:35]
	v_mov_b32_e32 v1, s24
	v_add_co_u32_e64 v26, s[8:9], s20, v18
	v_addc_co_u32_e64 v27, s[8:9], v1, v19, s[8:9]
	global_load_dwordx2 v[24:25], v[26:27], off
	ds_read_b128 v[18:21], v60
	s_mov_b64 s[18:19], 0
.LBB1_54:                               ; =>This Inner Loop Header: Depth=1
	s_waitcnt vmcnt(0) lgkmcnt(0)
	v_add_f64 v[22:23], v[24:25], v[18:19]
	global_atomic_cmpswap_x2 v[22:23], v[26:27], v[22:25], off glc
	s_waitcnt vmcnt(0)
	v_cmp_eq_u64_e64 s[8:9], v[22:23], v[24:25]
	s_or_b64 s[18:19], s[8:9], s[18:19]
	v_pk_mov_b32 v[24:25], v[22:23], v[22:23] op_sel:[0,1]
	s_andn2_b64 exec, exec, s[18:19]
	s_cbranch_execnz .LBB1_54
; %bb.55:
	s_or_b64 exec, exec, s[18:19]
	global_load_dwordx2 v[24:25], v[26:27], off offset:8
	s_mov_b64 s[18:19], 0
.LBB1_56:                               ; =>This Inner Loop Header: Depth=1
	s_waitcnt vmcnt(0)
	v_add_f64 v[22:23], v[24:25], v[20:21]
	global_atomic_cmpswap_x2 v[18:19], v[26:27], v[22:25], off offset:8 glc
	s_waitcnt vmcnt(0)
	v_cmp_eq_u64_e64 s[8:9], v[18:19], v[24:25]
	s_or_b64 s[18:19], s[8:9], s[18:19]
	v_pk_mov_b32 v[24:25], v[18:19], v[18:19] op_sel:[0,1]
	s_andn2_b64 exec, exec, s[18:19]
	s_cbranch_execnz .LBB1_56
.LBB1_57:
	s_or_b64 exec, exec, s[16:17]
	s_and_b64 s[8:9], s[10:11], s[6:7]
	s_and_saveexec_b64 s[10:11], s[8:9]
	s_cbranch_execz .LBB1_62
; %bb.58:
	v_lshlrev_b64 v[18:19], 3, v[34:35]
	v_mov_b32_e32 v1, s24
	v_add_co_u32_e64 v26, s[8:9], s20, v18
	v_addc_co_u32_e64 v27, s[8:9], v1, v19, s[8:9]
	global_load_dwordx2 v[24:25], v[26:27], off offset:16
	ds_read_b128 v[18:21], v60 offset:16
	s_mov_b64 s[16:17], 0
.LBB1_59:                               ; =>This Inner Loop Header: Depth=1
	s_waitcnt vmcnt(0) lgkmcnt(0)
	v_add_f64 v[22:23], v[24:25], v[18:19]
	global_atomic_cmpswap_x2 v[22:23], v[26:27], v[22:25], off offset:16 glc
	s_waitcnt vmcnt(0)
	v_cmp_eq_u64_e64 s[8:9], v[22:23], v[24:25]
	s_or_b64 s[16:17], s[8:9], s[16:17]
	v_pk_mov_b32 v[24:25], v[22:23], v[22:23] op_sel:[0,1]
	s_andn2_b64 exec, exec, s[16:17]
	s_cbranch_execnz .LBB1_59
; %bb.60:
	s_or_b64 exec, exec, s[16:17]
	global_load_dwordx2 v[24:25], v[26:27], off offset:24
	s_mov_b64 s[16:17], 0
.LBB1_61:                               ; =>This Inner Loop Header: Depth=1
	s_waitcnt vmcnt(0)
	v_add_f64 v[22:23], v[24:25], v[20:21]
	global_atomic_cmpswap_x2 v[18:19], v[26:27], v[22:25], off offset:24 glc
	s_waitcnt vmcnt(0)
	v_cmp_eq_u64_e64 s[8:9], v[18:19], v[24:25]
	s_or_b64 s[16:17], s[8:9], s[16:17]
	v_pk_mov_b32 v[24:25], v[18:19], v[18:19] op_sel:[0,1]
	s_andn2_b64 exec, exec, s[16:17]
	s_cbranch_execnz .LBB1_61
.LBB1_62:
	s_or_b64 exec, exec, s[10:11]
	s_and_b64 s[8:9], s[12:13], s[6:7]
	s_and_saveexec_b64 s[10:11], s[8:9]
	s_cbranch_execz .LBB1_67
; %bb.63:
	v_lshlrev_b64 v[18:19], 3, v[34:35]
	v_mov_b32_e32 v1, s24
	v_add_co_u32_e64 v26, s[8:9], s20, v18
	v_addc_co_u32_e64 v27, s[8:9], v1, v19, s[8:9]
	global_load_dwordx2 v[24:25], v[26:27], off offset:32
	ds_read_b128 v[18:21], v60 offset:32
	s_mov_b64 s[12:13], 0
.LBB1_64:                               ; =>This Inner Loop Header: Depth=1
	s_waitcnt vmcnt(0) lgkmcnt(0)
	v_add_f64 v[22:23], v[24:25], v[18:19]
	global_atomic_cmpswap_x2 v[22:23], v[26:27], v[22:25], off offset:32 glc
	s_waitcnt vmcnt(0)
	v_cmp_eq_u64_e64 s[8:9], v[22:23], v[24:25]
	s_or_b64 s[12:13], s[8:9], s[12:13]
	v_pk_mov_b32 v[24:25], v[22:23], v[22:23] op_sel:[0,1]
	s_andn2_b64 exec, exec, s[12:13]
	s_cbranch_execnz .LBB1_64
; %bb.65:
	s_or_b64 exec, exec, s[12:13]
	global_load_dwordx2 v[24:25], v[26:27], off offset:40
	s_mov_b64 s[12:13], 0
.LBB1_66:                               ; =>This Inner Loop Header: Depth=1
	s_waitcnt vmcnt(0)
	v_add_f64 v[22:23], v[24:25], v[20:21]
	global_atomic_cmpswap_x2 v[18:19], v[26:27], v[22:25], off offset:40 glc
	s_waitcnt vmcnt(0)
	v_cmp_eq_u64_e64 s[8:9], v[18:19], v[24:25]
	s_or_b64 s[12:13], s[8:9], s[12:13]
	v_pk_mov_b32 v[24:25], v[18:19], v[18:19] op_sel:[0,1]
	s_andn2_b64 exec, exec, s[12:13]
	s_cbranch_execnz .LBB1_66
.LBB1_67:
	;; [unrolled: 37-line block ×3, first 2 shown]
	s_or_b64 exec, exec, s[10:11]
	v_add_u32_e32 v18, s21, v0
	v_add_u32_e32 v0, 0x800, v67
	s_and_b64 s[10:11], vcc, s[6:7]
	v_ashrrev_i32_e32 v19, 31, v18
	s_waitcnt lgkmcnt(0)
	s_barrier
	ds_write2_b64 v0, v[16:17], v[8:9] offset0:128 offset1:144
	ds_write2_b64 v0, v[14:15], v[6:7] offset1:16
	ds_write2_b64 v67, v[12:13], v[4:5] offset0:128 offset1:144
	ds_write2_b64 v67, v[10:11], v[2:3] offset1:16
	s_waitcnt lgkmcnt(0)
	s_barrier
	s_and_saveexec_b64 s[8:9], s[10:11]
	s_cbranch_execz .LBB1_77
; %bb.73:
	v_lshlrev_b64 v[0:1], 3, v[18:19]
	v_mov_b32_e32 v2, s24
	v_add_co_u32_e32 v8, vcc, s20, v0
	v_addc_co_u32_e32 v9, vcc, v2, v1, vcc
	global_load_dwordx2 v[6:7], v[8:9], off
	ds_read_b128 v[0:3], v60
	s_mov_b64 s[10:11], 0
.LBB1_74:                               ; =>This Inner Loop Header: Depth=1
	s_waitcnt vmcnt(0) lgkmcnt(0)
	v_add_f64 v[4:5], v[6:7], v[0:1]
	global_atomic_cmpswap_x2 v[4:5], v[8:9], v[4:7], off glc
	s_waitcnt vmcnt(0)
	v_cmp_eq_u64_e32 vcc, v[4:5], v[6:7]
	s_or_b64 s[10:11], vcc, s[10:11]
	v_pk_mov_b32 v[6:7], v[4:5], v[4:5] op_sel:[0,1]
	s_andn2_b64 exec, exec, s[10:11]
	s_cbranch_execnz .LBB1_74
; %bb.75:
	s_or_b64 exec, exec, s[10:11]
	global_load_dwordx2 v[6:7], v[8:9], off offset:8
	s_mov_b64 s[10:11], 0
.LBB1_76:                               ; =>This Inner Loop Header: Depth=1
	s_waitcnt vmcnt(0)
	v_add_f64 v[4:5], v[6:7], v[2:3]
	global_atomic_cmpswap_x2 v[0:1], v[8:9], v[4:7], off offset:8 glc
	s_waitcnt vmcnt(0)
	v_cmp_eq_u64_e32 vcc, v[0:1], v[6:7]
	s_or_b64 s[10:11], vcc, s[10:11]
	v_pk_mov_b32 v[6:7], v[0:1], v[0:1] op_sel:[0,1]
	s_andn2_b64 exec, exec, s[10:11]
	s_cbranch_execnz .LBB1_76
.LBB1_77:
	s_or_b64 exec, exec, s[8:9]
	s_and_b64 s[8:9], s[0:1], s[6:7]
	s_and_saveexec_b64 s[0:1], s[8:9]
	s_cbranch_execz .LBB1_82
; %bb.78:
	v_lshlrev_b64 v[0:1], 3, v[18:19]
	v_mov_b32_e32 v2, s24
	v_add_co_u32_e32 v8, vcc, s20, v0
	v_addc_co_u32_e32 v9, vcc, v2, v1, vcc
	global_load_dwordx2 v[6:7], v[8:9], off offset:16
	ds_read_b128 v[0:3], v60 offset:16
	s_mov_b64 s[8:9], 0
.LBB1_79:                               ; =>This Inner Loop Header: Depth=1
	s_waitcnt vmcnt(0) lgkmcnt(0)
	v_add_f64 v[4:5], v[6:7], v[0:1]
	global_atomic_cmpswap_x2 v[4:5], v[8:9], v[4:7], off offset:16 glc
	s_waitcnt vmcnt(0)
	v_cmp_eq_u64_e32 vcc, v[4:5], v[6:7]
	s_or_b64 s[8:9], vcc, s[8:9]
	v_pk_mov_b32 v[6:7], v[4:5], v[4:5] op_sel:[0,1]
	s_andn2_b64 exec, exec, s[8:9]
	s_cbranch_execnz .LBB1_79
; %bb.80:
	s_or_b64 exec, exec, s[8:9]
	global_load_dwordx2 v[6:7], v[8:9], off offset:24
	s_mov_b64 s[8:9], 0
.LBB1_81:                               ; =>This Inner Loop Header: Depth=1
	s_waitcnt vmcnt(0)
	v_add_f64 v[4:5], v[6:7], v[2:3]
	global_atomic_cmpswap_x2 v[0:1], v[8:9], v[4:7], off offset:24 glc
	s_waitcnt vmcnt(0)
	v_cmp_eq_u64_e32 vcc, v[0:1], v[6:7]
	s_or_b64 s[8:9], vcc, s[8:9]
	v_pk_mov_b32 v[6:7], v[0:1], v[0:1] op_sel:[0,1]
	s_andn2_b64 exec, exec, s[8:9]
	s_cbranch_execnz .LBB1_81
.LBB1_82:
	s_or_b64 exec, exec, s[0:1]
	s_and_b64 s[2:3], s[2:3], s[6:7]
	s_and_saveexec_b64 s[0:1], s[2:3]
	s_cbranch_execz .LBB1_87
; %bb.83:
	v_lshlrev_b64 v[0:1], 3, v[18:19]
	v_mov_b32_e32 v2, s24
	v_add_co_u32_e32 v8, vcc, s20, v0
	v_addc_co_u32_e32 v9, vcc, v2, v1, vcc
	global_load_dwordx2 v[6:7], v[8:9], off offset:32
	ds_read_b128 v[0:3], v60 offset:32
	s_mov_b64 s[2:3], 0
.LBB1_84:                               ; =>This Inner Loop Header: Depth=1
	s_waitcnt vmcnt(0) lgkmcnt(0)
	v_add_f64 v[4:5], v[6:7], v[0:1]
	global_atomic_cmpswap_x2 v[4:5], v[8:9], v[4:7], off offset:32 glc
	s_waitcnt vmcnt(0)
	v_cmp_eq_u64_e32 vcc, v[4:5], v[6:7]
	s_or_b64 s[2:3], vcc, s[2:3]
	v_pk_mov_b32 v[6:7], v[4:5], v[4:5] op_sel:[0,1]
	s_andn2_b64 exec, exec, s[2:3]
	s_cbranch_execnz .LBB1_84
; %bb.85:
	s_or_b64 exec, exec, s[2:3]
	global_load_dwordx2 v[6:7], v[8:9], off offset:40
	s_mov_b64 s[2:3], 0
.LBB1_86:                               ; =>This Inner Loop Header: Depth=1
	s_waitcnt vmcnt(0)
	v_add_f64 v[4:5], v[6:7], v[2:3]
	global_atomic_cmpswap_x2 v[0:1], v[8:9], v[4:7], off offset:40 glc
	s_waitcnt vmcnt(0)
	v_cmp_eq_u64_e32 vcc, v[0:1], v[6:7]
	s_or_b64 s[2:3], vcc, s[2:3]
	v_pk_mov_b32 v[6:7], v[0:1], v[0:1] op_sel:[0,1]
	s_andn2_b64 exec, exec, s[2:3]
	s_cbranch_execnz .LBB1_86
.LBB1_87:
	;; [unrolled: 37-line block ×3, first 2 shown]
	s_endpgm
	.section	.rodata,"a",@progbits
	.p2align	6, 0x0
	.amdhsa_kernel _ZN2ck27kernel_gemm_xdl_cshuffle_v3INS_28GridwiseGemm_xdl_cshuffle_v3INS_13tensor_layout4gemm8RowMajorENS3_11ColumnMajorES4_dddddNS_16tensor_operation12element_wise11PassThroughES8_S8_LNS6_6device18GemmSpecializationE0ELi128ELi64ELi64ELi64ELi4ELi4ELi16ELi16ELi2ELi4ENS_8SequenceIJLi4ELi32ELi1EEEENSB_IJLi1ELi0ELi2EEEESD_Li2ELi2ELi2ELb0ELi0ESC_SD_SD_Li2ELi2ELi2ELb0ELi0ELi1ELi2ENSB_IJLi1ELi32ELi1ELi4EEEELi2ELNS_26BlockGemmPipelineSchedulerE0ELNS_24BlockGemmPipelineVersionE2EddLb0ELb0ELb0ELi0ELb0EEELb1ELNS_25InMemoryDataOperationEnumE1ELi2ELNS_10TailNumberE10EEEvNT_8ArgumentE
		.amdhsa_group_segment_fixed_size 65536
		.amdhsa_private_segment_fixed_size 804
		.amdhsa_kernarg_size 112
		.amdhsa_user_sgpr_count 6
		.amdhsa_user_sgpr_private_segment_buffer 1
		.amdhsa_user_sgpr_dispatch_ptr 0
		.amdhsa_user_sgpr_queue_ptr 0
		.amdhsa_user_sgpr_kernarg_segment_ptr 1
		.amdhsa_user_sgpr_dispatch_id 0
		.amdhsa_user_sgpr_flat_scratch_init 0
		.amdhsa_user_sgpr_kernarg_preload_length 0
		.amdhsa_user_sgpr_kernarg_preload_offset 0
		.amdhsa_user_sgpr_private_segment_size 0
		.amdhsa_uses_dynamic_stack 0
		.amdhsa_system_sgpr_private_segment_wavefront_offset 1
		.amdhsa_system_sgpr_workgroup_id_x 1
		.amdhsa_system_sgpr_workgroup_id_y 0
		.amdhsa_system_sgpr_workgroup_id_z 1
		.amdhsa_system_sgpr_workgroup_info 0
		.amdhsa_system_vgpr_workitem_id 0
		.amdhsa_next_free_vgpr 256
		.amdhsa_next_free_sgpr 32
		.amdhsa_accum_offset 256
		.amdhsa_reserve_vcc 1
		.amdhsa_reserve_flat_scratch 0
		.amdhsa_float_round_mode_32 0
		.amdhsa_float_round_mode_16_64 0
		.amdhsa_float_denorm_mode_32 3
		.amdhsa_float_denorm_mode_16_64 3
		.amdhsa_dx10_clamp 1
		.amdhsa_ieee_mode 1
		.amdhsa_fp16_overflow 0
		.amdhsa_tg_split 0
		.amdhsa_exception_fp_ieee_invalid_op 0
		.amdhsa_exception_fp_denorm_src 0
		.amdhsa_exception_fp_ieee_div_zero 0
		.amdhsa_exception_fp_ieee_overflow 0
		.amdhsa_exception_fp_ieee_underflow 0
		.amdhsa_exception_fp_ieee_inexact 0
		.amdhsa_exception_int_div_zero 0
	.end_amdhsa_kernel
	.section	.text._ZN2ck27kernel_gemm_xdl_cshuffle_v3INS_28GridwiseGemm_xdl_cshuffle_v3INS_13tensor_layout4gemm8RowMajorENS3_11ColumnMajorES4_dddddNS_16tensor_operation12element_wise11PassThroughES8_S8_LNS6_6device18GemmSpecializationE0ELi128ELi64ELi64ELi64ELi4ELi4ELi16ELi16ELi2ELi4ENS_8SequenceIJLi4ELi32ELi1EEEENSB_IJLi1ELi0ELi2EEEESD_Li2ELi2ELi2ELb0ELi0ESC_SD_SD_Li2ELi2ELi2ELb0ELi0ELi1ELi2ENSB_IJLi1ELi32ELi1ELi4EEEELi2ELNS_26BlockGemmPipelineSchedulerE0ELNS_24BlockGemmPipelineVersionE2EddLb0ELb0ELb0ELi0ELb0EEELb1ELNS_25InMemoryDataOperationEnumE1ELi2ELNS_10TailNumberE10EEEvNT_8ArgumentE,"axG",@progbits,_ZN2ck27kernel_gemm_xdl_cshuffle_v3INS_28GridwiseGemm_xdl_cshuffle_v3INS_13tensor_layout4gemm8RowMajorENS3_11ColumnMajorES4_dddddNS_16tensor_operation12element_wise11PassThroughES8_S8_LNS6_6device18GemmSpecializationE0ELi128ELi64ELi64ELi64ELi4ELi4ELi16ELi16ELi2ELi4ENS_8SequenceIJLi4ELi32ELi1EEEENSB_IJLi1ELi0ELi2EEEESD_Li2ELi2ELi2ELb0ELi0ESC_SD_SD_Li2ELi2ELi2ELb0ELi0ELi1ELi2ENSB_IJLi1ELi32ELi1ELi4EEEELi2ELNS_26BlockGemmPipelineSchedulerE0ELNS_24BlockGemmPipelineVersionE2EddLb0ELb0ELb0ELi0ELb0EEELb1ELNS_25InMemoryDataOperationEnumE1ELi2ELNS_10TailNumberE10EEEvNT_8ArgumentE,comdat
.Lfunc_end1:
	.size	_ZN2ck27kernel_gemm_xdl_cshuffle_v3INS_28GridwiseGemm_xdl_cshuffle_v3INS_13tensor_layout4gemm8RowMajorENS3_11ColumnMajorES4_dddddNS_16tensor_operation12element_wise11PassThroughES8_S8_LNS6_6device18GemmSpecializationE0ELi128ELi64ELi64ELi64ELi4ELi4ELi16ELi16ELi2ELi4ENS_8SequenceIJLi4ELi32ELi1EEEENSB_IJLi1ELi0ELi2EEEESD_Li2ELi2ELi2ELb0ELi0ESC_SD_SD_Li2ELi2ELi2ELb0ELi0ELi1ELi2ENSB_IJLi1ELi32ELi1ELi4EEEELi2ELNS_26BlockGemmPipelineSchedulerE0ELNS_24BlockGemmPipelineVersionE2EddLb0ELb0ELb0ELi0ELb0EEELb1ELNS_25InMemoryDataOperationEnumE1ELi2ELNS_10TailNumberE10EEEvNT_8ArgumentE, .Lfunc_end1-_ZN2ck27kernel_gemm_xdl_cshuffle_v3INS_28GridwiseGemm_xdl_cshuffle_v3INS_13tensor_layout4gemm8RowMajorENS3_11ColumnMajorES4_dddddNS_16tensor_operation12element_wise11PassThroughES8_S8_LNS6_6device18GemmSpecializationE0ELi128ELi64ELi64ELi64ELi4ELi4ELi16ELi16ELi2ELi4ENS_8SequenceIJLi4ELi32ELi1EEEENSB_IJLi1ELi0ELi2EEEESD_Li2ELi2ELi2ELb0ELi0ESC_SD_SD_Li2ELi2ELi2ELb0ELi0ELi1ELi2ENSB_IJLi1ELi32ELi1ELi4EEEELi2ELNS_26BlockGemmPipelineSchedulerE0ELNS_24BlockGemmPipelineVersionE2EddLb0ELb0ELb0ELi0ELb0EEELb1ELNS_25InMemoryDataOperationEnumE1ELi2ELNS_10TailNumberE10EEEvNT_8ArgumentE
                                        ; -- End function
	.section	.AMDGPU.csdata,"",@progbits
; Kernel info:
; codeLenInByte = 16384
; NumSgprs: 36
; NumVgprs: 256
; NumAgprs: 0
; TotalNumVgprs: 256
; ScratchSize: 804
; MemoryBound: 0
; FloatMode: 240
; IeeeMode: 1
; LDSByteSize: 65536 bytes/workgroup (compile time only)
; SGPRBlocks: 4
; VGPRBlocks: 31
; NumSGPRsForWavesPerEU: 36
; NumVGPRsForWavesPerEU: 256
; AccumOffset: 256
; Occupancy: 1
; WaveLimiterHint : 0
; COMPUTE_PGM_RSRC2:SCRATCH_EN: 1
; COMPUTE_PGM_RSRC2:USER_SGPR: 6
; COMPUTE_PGM_RSRC2:TRAP_HANDLER: 0
; COMPUTE_PGM_RSRC2:TGID_X_EN: 1
; COMPUTE_PGM_RSRC2:TGID_Y_EN: 0
; COMPUTE_PGM_RSRC2:TGID_Z_EN: 1
; COMPUTE_PGM_RSRC2:TIDIG_COMP_CNT: 0
; COMPUTE_PGM_RSRC3_GFX90A:ACCUM_OFFSET: 63
; COMPUTE_PGM_RSRC3_GFX90A:TG_SPLIT: 0
	.section	.text._ZN2ck27kernel_gemm_xdl_cshuffle_v3INS_28GridwiseGemm_xdl_cshuffle_v3INS_13tensor_layout4gemm8RowMajorENS3_11ColumnMajorES4_dddddNS_16tensor_operation12element_wise11PassThroughES8_S8_LNS6_6device18GemmSpecializationE0ELi128ELi64ELi64ELi64ELi4ELi4ELi16ELi16ELi2ELi4ENS_8SequenceIJLi4ELi32ELi1EEEENSB_IJLi1ELi0ELi2EEEESD_Li2ELi2ELi2ELb0ELi0ESC_SD_SD_Li2ELi2ELi2ELb0ELi0ELi1ELi2ENSB_IJLi1ELi32ELi1ELi4EEEELi2ELNS_26BlockGemmPipelineSchedulerE0ELNS_24BlockGemmPipelineVersionE2EddLb0ELb0ELb0ELi0ELb0EEELb1ELNS_25InMemoryDataOperationEnumE0ELi2ELNS_10TailNumberE10EEEvNT_8ArgumentE,"axG",@progbits,_ZN2ck27kernel_gemm_xdl_cshuffle_v3INS_28GridwiseGemm_xdl_cshuffle_v3INS_13tensor_layout4gemm8RowMajorENS3_11ColumnMajorES4_dddddNS_16tensor_operation12element_wise11PassThroughES8_S8_LNS6_6device18GemmSpecializationE0ELi128ELi64ELi64ELi64ELi4ELi4ELi16ELi16ELi2ELi4ENS_8SequenceIJLi4ELi32ELi1EEEENSB_IJLi1ELi0ELi2EEEESD_Li2ELi2ELi2ELb0ELi0ESC_SD_SD_Li2ELi2ELi2ELb0ELi0ELi1ELi2ENSB_IJLi1ELi32ELi1ELi4EEEELi2ELNS_26BlockGemmPipelineSchedulerE0ELNS_24BlockGemmPipelineVersionE2EddLb0ELb0ELb0ELi0ELb0EEELb1ELNS_25InMemoryDataOperationEnumE0ELi2ELNS_10TailNumberE10EEEvNT_8ArgumentE,comdat
	.protected	_ZN2ck27kernel_gemm_xdl_cshuffle_v3INS_28GridwiseGemm_xdl_cshuffle_v3INS_13tensor_layout4gemm8RowMajorENS3_11ColumnMajorES4_dddddNS_16tensor_operation12element_wise11PassThroughES8_S8_LNS6_6device18GemmSpecializationE0ELi128ELi64ELi64ELi64ELi4ELi4ELi16ELi16ELi2ELi4ENS_8SequenceIJLi4ELi32ELi1EEEENSB_IJLi1ELi0ELi2EEEESD_Li2ELi2ELi2ELb0ELi0ESC_SD_SD_Li2ELi2ELi2ELb0ELi0ELi1ELi2ENSB_IJLi1ELi32ELi1ELi4EEEELi2ELNS_26BlockGemmPipelineSchedulerE0ELNS_24BlockGemmPipelineVersionE2EddLb0ELb0ELb0ELi0ELb0EEELb1ELNS_25InMemoryDataOperationEnumE0ELi2ELNS_10TailNumberE10EEEvNT_8ArgumentE ; -- Begin function _ZN2ck27kernel_gemm_xdl_cshuffle_v3INS_28GridwiseGemm_xdl_cshuffle_v3INS_13tensor_layout4gemm8RowMajorENS3_11ColumnMajorES4_dddddNS_16tensor_operation12element_wise11PassThroughES8_S8_LNS6_6device18GemmSpecializationE0ELi128ELi64ELi64ELi64ELi4ELi4ELi16ELi16ELi2ELi4ENS_8SequenceIJLi4ELi32ELi1EEEENSB_IJLi1ELi0ELi2EEEESD_Li2ELi2ELi2ELb0ELi0ESC_SD_SD_Li2ELi2ELi2ELb0ELi0ELi1ELi2ENSB_IJLi1ELi32ELi1ELi4EEEELi2ELNS_26BlockGemmPipelineSchedulerE0ELNS_24BlockGemmPipelineVersionE2EddLb0ELb0ELb0ELi0ELb0EEELb1ELNS_25InMemoryDataOperationEnumE0ELi2ELNS_10TailNumberE10EEEvNT_8ArgumentE
	.globl	_ZN2ck27kernel_gemm_xdl_cshuffle_v3INS_28GridwiseGemm_xdl_cshuffle_v3INS_13tensor_layout4gemm8RowMajorENS3_11ColumnMajorES4_dddddNS_16tensor_operation12element_wise11PassThroughES8_S8_LNS6_6device18GemmSpecializationE0ELi128ELi64ELi64ELi64ELi4ELi4ELi16ELi16ELi2ELi4ENS_8SequenceIJLi4ELi32ELi1EEEENSB_IJLi1ELi0ELi2EEEESD_Li2ELi2ELi2ELb0ELi0ESC_SD_SD_Li2ELi2ELi2ELb0ELi0ELi1ELi2ENSB_IJLi1ELi32ELi1ELi4EEEELi2ELNS_26BlockGemmPipelineSchedulerE0ELNS_24BlockGemmPipelineVersionE2EddLb0ELb0ELb0ELi0ELb0EEELb1ELNS_25InMemoryDataOperationEnumE0ELi2ELNS_10TailNumberE10EEEvNT_8ArgumentE
	.p2align	8
	.type	_ZN2ck27kernel_gemm_xdl_cshuffle_v3INS_28GridwiseGemm_xdl_cshuffle_v3INS_13tensor_layout4gemm8RowMajorENS3_11ColumnMajorES4_dddddNS_16tensor_operation12element_wise11PassThroughES8_S8_LNS6_6device18GemmSpecializationE0ELi128ELi64ELi64ELi64ELi4ELi4ELi16ELi16ELi2ELi4ENS_8SequenceIJLi4ELi32ELi1EEEENSB_IJLi1ELi0ELi2EEEESD_Li2ELi2ELi2ELb0ELi0ESC_SD_SD_Li2ELi2ELi2ELb0ELi0ELi1ELi2ENSB_IJLi1ELi32ELi1ELi4EEEELi2ELNS_26BlockGemmPipelineSchedulerE0ELNS_24BlockGemmPipelineVersionE2EddLb0ELb0ELb0ELi0ELb0EEELb1ELNS_25InMemoryDataOperationEnumE0ELi2ELNS_10TailNumberE10EEEvNT_8ArgumentE,@function
_ZN2ck27kernel_gemm_xdl_cshuffle_v3INS_28GridwiseGemm_xdl_cshuffle_v3INS_13tensor_layout4gemm8RowMajorENS3_11ColumnMajorES4_dddddNS_16tensor_operation12element_wise11PassThroughES8_S8_LNS6_6device18GemmSpecializationE0ELi128ELi64ELi64ELi64ELi4ELi4ELi16ELi16ELi2ELi4ENS_8SequenceIJLi4ELi32ELi1EEEENSB_IJLi1ELi0ELi2EEEESD_Li2ELi2ELi2ELb0ELi0ESC_SD_SD_Li2ELi2ELi2ELb0ELi0ELi1ELi2ENSB_IJLi1ELi32ELi1ELi4EEEELi2ELNS_26BlockGemmPipelineSchedulerE0ELNS_24BlockGemmPipelineVersionE2EddLb0ELb0ELb0ELi0ELb0EEELb1ELNS_25InMemoryDataOperationEnumE0ELi2ELNS_10TailNumberE10EEEvNT_8ArgumentE: ; @_ZN2ck27kernel_gemm_xdl_cshuffle_v3INS_28GridwiseGemm_xdl_cshuffle_v3INS_13tensor_layout4gemm8RowMajorENS3_11ColumnMajorES4_dddddNS_16tensor_operation12element_wise11PassThroughES8_S8_LNS6_6device18GemmSpecializationE0ELi128ELi64ELi64ELi64ELi4ELi4ELi16ELi16ELi2ELi4ENS_8SequenceIJLi4ELi32ELi1EEEENSB_IJLi1ELi0ELi2EEEESD_Li2ELi2ELi2ELb0ELi0ESC_SD_SD_Li2ELi2ELi2ELb0ELi0ELi1ELi2ENSB_IJLi1ELi32ELi1ELi4EEEELi2ELNS_26BlockGemmPipelineSchedulerE0ELNS_24BlockGemmPipelineVersionE2EddLb0ELb0ELb0ELi0ELb0EEELb1ELNS_25InMemoryDataOperationEnumE0ELi2ELNS_10TailNumberE10EEEvNT_8ArgumentE
; %bb.0:
	s_mov_b64 s[30:31], s[2:3]
	s_mov_b64 s[28:29], s[0:1]
	s_add_u32 s28, s28, s8
	s_load_dwordx8 s[16:23], s[4:5], 0x10
	s_load_dword s12, s[4:5], 0x68
	s_load_dwordx2 s[8:9], s[4:5], 0x60
	s_load_dwordx4 s[0:3], s[4:5], 0x50
	s_addc_u32 s29, s29, 0
	s_waitcnt lgkmcnt(0)
	s_cmp_gt_i32 s22, 1
	s_cselect_b64 s[10:11], -1, 0
	s_bitcmp1_b32 s12, 0
	s_cselect_b64 s[12:13], -1, 0
	s_and_b64 s[10:11], s[10:11], s[12:13]
	v_mov_b32_e32 v198, v0
	s_andn2_b64 vcc, exec, s[10:11]
	s_mov_b64 s[10:11], 0
	s_cbranch_vccnz .LBB2_2
; %bb.1:
	s_mul_i32 s10, s16, s7
	s_mul_i32 s10, s10, s17
	s_ashr_i32 s11, s10, 31
.LBB2_2:
	s_load_dword s13, s[4:5], 0x34
	s_load_dword s23, s[4:5], 0x3c
	s_add_i32 s4, s16, -1
	s_cmp_lt_u32 s4, 64
	s_mov_b32 s12, 0
	s_cbranch_scc1 .LBB2_10
; %bb.3:
	s_add_i32 s4, s17, -1
	s_cmp_lt_u32 s4, 64
	s_mov_b32 s4, 0
	s_cbranch_scc1 .LBB2_9
; %bb.4:
	s_add_i32 s4, s16, 63
	s_ashr_i32 s5, s4, 31
	s_lshr_b32 s5, s5, 26
	s_add_i32 s4, s4, s5
	s_ashr_i32 s14, s4, 6
	s_add_i32 s4, s17, 63
	s_ashr_i32 s5, s4, 31
	s_lshr_b32 s5, s5, 26
	s_add_i32 s4, s4, s5
	s_ashr_i32 s12, s4, 6
	s_mul_i32 s4, s12, s14
	s_add_i32 s5, s4, 7
	s_ashr_i32 s15, s5, 31
	s_lshr_b32 s15, s15, 29
	s_add_i32 s5, s5, s15
	s_ashr_i32 s15, s5, 3
	s_and_b32 s5, s5, -8
	s_sub_i32 s24, s4, s5
	s_ashr_i32 s4, s6, 31
	s_lshr_b32 s4, s4, 29
	s_add_i32 s26, s6, s4
	s_and_b32 s4, s26, -8
	s_add_i32 s24, s24, 8
	s_sub_i32 s25, s6, s4
	s_cmp_gt_i32 s25, s24
	s_cbranch_scc1 .LBB2_6
; %bb.5:
	s_mul_i32 s6, s15, s25
	s_ashr_i32 s4, s26, 3
	s_cbranch_execz .LBB2_7
	s_branch .LBB2_8
.LBB2_6:
                                        ; implicit-def: $sgpr6
	s_ashr_i32 s4, s26, 3
.LBB2_7:
	s_add_i32 s5, s15, -1
	s_mul_i32 s5, s5, s25
	s_add_i32 s6, s24, s5
.LBB2_8:
	s_abs_i32 s5, s12
	v_cvt_f32_u32_e32 v0, s5
	s_sub_i32 s24, 0, s5
	s_add_i32 s4, s6, s4
	s_abs_i32 s15, s4
	v_rcp_iflag_f32_e32 v0, v0
	s_xor_b32 s6, s4, s12
	s_ashr_i32 s6, s6, 31
	v_mul_f32_e32 v0, 0x4f7ffffe, v0
	v_cvt_u32_f32_e32 v0, v0
	v_readfirstlane_b32 s25, v0
	s_mul_i32 s24, s24, s25
	s_mul_hi_u32 s24, s25, s24
	s_add_i32 s25, s25, s24
	s_mul_hi_u32 s24, s15, s25
	s_mul_i32 s25, s24, s5
	s_sub_i32 s15, s15, s25
	s_add_i32 s26, s24, 1
	s_sub_i32 s25, s15, s5
	s_cmp_ge_u32 s15, s5
	s_cselect_b32 s24, s26, s24
	s_cselect_b32 s15, s25, s15
	s_add_i32 s25, s24, 1
	s_cmp_ge_u32 s15, s5
	s_cselect_b32 s5, s25, s24
	s_xor_b32 s5, s5, s6
	s_lshr_b32 s15, s14, 30
	s_sub_i32 s5, s5, s6
	s_add_i32 s15, s14, s15
	s_mul_i32 s6, s5, s12
	s_sub_i32 s4, s4, s6
	s_and_b32 s6, s15, -4
	s_sub_i32 s14, s14, s6
	s_cmp_ge_i32 s5, s6
	s_cselect_b32 s6, s14, 4
	s_abs_i32 s15, s6
	v_cvt_f32_u32_e32 v0, s15
	s_ashr_i32 s14, s5, 31
	s_lshr_b32 s14, s14, 30
	s_add_i32 s14, s5, s14
	v_rcp_iflag_f32_e32 v0, v0
	s_and_b32 s14, s14, -4
	s_sub_i32 s14, s5, s14
	s_sub_i32 s25, 0, s15
	v_mul_f32_e32 v0, 0x4f7ffffe, v0
	v_cvt_u32_f32_e32 v0, v0
	s_mul_i32 s12, s14, s12
	s_add_i32 s12, s12, s4
	s_abs_i32 s24, s12
	v_readfirstlane_b32 s26, v0
	s_mul_i32 s25, s25, s26
	s_mul_hi_u32 s25, s26, s25
	s_add_i32 s26, s26, s25
	s_mul_hi_u32 s25, s24, s26
	s_mul_i32 s26, s25, s15
	s_xor_b32 s4, s12, s6
	s_sub_i32 s24, s24, s26
	s_ashr_i32 s4, s4, 31
	s_add_i32 s26, s25, 1
	s_sub_i32 s27, s24, s15
	s_cmp_ge_u32 s24, s15
	s_cselect_b32 s25, s26, s25
	s_cselect_b32 s24, s27, s24
	s_add_i32 s26, s25, 1
	s_cmp_ge_u32 s24, s15
	s_cselect_b32 s15, s26, s25
	s_xor_b32 s15, s15, s4
	s_sub_i32 s4, s15, s4
	s_mul_i32 s6, s4, s6
	s_sub_i32 s6, s12, s6
	s_add_i32 s6, s6, s5
	s_sub_i32 s6, s6, s14
.LBB2_9:
	s_mov_b32 s12, s6
	s_mov_b32 s6, s4
.LBB2_10:
	s_waitcnt lgkmcnt(0)
	s_mul_i32 s4, s13, s7
	s_ashr_i32 s5, s4, 31
	s_lshl_b64 s[4:5], s[4:5], 3
	s_add_u32 s0, s0, s4
	s_addc_u32 s1, s1, s5
	s_add_u32 s4, s2, s4
	s_addc_u32 s5, s3, s5
	s_add_u32 s14, 0, 0
	s_addc_u32 s15, s16, -1
	s_add_u32 s3, 0, 0
	s_addc_u32 s3, s17, 0x1fffffff
	s_mul_i32 s24, s3, s20
	s_add_i32 s3, s22, -1
	s_mul_i32 s22, s3, s13
	v_lshlrev_b32_e32 v0, 2, v198
	s_sub_i32 s18, s18, s22
	v_and_b32_e32 v153, 12, v0
	v_lshrrev_b32_e32 v0, 1, v198
	s_cmp_lt_u32 s7, s3
	v_and_b32_e32 v1, 62, v0
	v_and_b32_e32 v138, 14, v0
	s_cselect_b32 s7, s13, s18
	s_lshl_b32 s3, s12, 6
	s_lshl_b32 s13, s6, 6
	v_xor_b32_e32 v219, v138, v153
	v_lshlrev_b32_e32 v3, 6, v1
	v_add_u32_e32 v2, s3, v1
	v_lshl_or_b32 v139, v219, 2, v3
	v_add_u32_e32 v3, s13, v1
	v_lshlrev_b32_e32 v4, 2, v153
	v_mul_lo_u32 v2, v2, s19
	v_mul_lo_u32 v3, v3, s20
	v_add_u32_e32 v70, v2, v4
	v_add_u32_e32 v140, v3, v4
	v_and_b32_e32 v4, 63, v198
	v_and_b32_e32 v5, 48, v198
	v_sub_u32_e32 v9, v4, v5
	v_lshrrev_b32_e32 v4, 2, v198
	buffer_store_dword v4, off, s[28:31], 0 offset:776 ; 4-byte Folded Spill
	v_and_b32_e32 v4, 16, v4
	v_add_u32_e32 v141, v9, v4
	v_lshrrev_b16_e32 v4, 12, v141
	v_add_u16_e32 v4, v141, v4
	v_and_b32_e32 v4, -16, v4
	v_sub_u16_e32 v8, v141, v4
	v_lshrrev_b16_e32 v4, 11, v9
	v_and_b32_e32 v4, 15, v4
	v_add_u16_e32 v4, v9, v4
	s_ashr_i32 s3, s23, 31
	v_and_b32_e32 v4, 0xf0, v4
	s_lshr_b32 s3, s3, 28
	v_lshrrev_b32_e32 v7, 2, v5
	v_sub_u16_e32 v5, v9, v4
	s_add_i32 s23, s23, s3
	s_mul_i32 s2, s15, s19
	v_xor_b32_sdwa v6, v7, sext(v8) dst_sel:DWORD dst_unused:UNUSED_PAD src0_sel:DWORD src1_sel:WORD_0
	v_xor_b32_sdwa v4, v7, sext(v5) dst_sel:DWORD dst_unused:UNUSED_PAD src0_sel:DWORD src1_sel:BYTE_0
	s_ashr_i32 s23, s23, 4
	; sched_barrier mask(0x00000000)
	v_add_u32_e32 v62, 12, v70
	s_add_i32 s2, s7, s2
	v_add_lshl_u32 v71, v62, s19, 3
	s_lshl_b32 s2, s2, 3
	s_mov_b32 s3, 0x20000
	v_lshlrev_b32_e32 v142, 3, v70
	v_subrev_u32_e32 v18, 64, v71
	v_add_u32_e32 v30, 0xffffffb0, v71
	v_add_lshl_u32 v31, v70, s19, 3
	v_subrev_u32_e32 v50, 48, v71
	v_add_u32_e32 v72, 12, v140
	buffer_load_dwordx4 v[10:13], v142, s[0:3], 0 offen
	buffer_load_dwordx4 v[14:17], v142, s[0:3], 0 offen offset:16
	s_add_i32 s7, s7, s24
	buffer_load_dwordx4 v[18:21], v18, s[0:3], 0 offen
	s_nop 0
	buffer_load_dwordx4 v[22:25], v31, s[0:3], 0 offen
	buffer_load_dwordx4 v[26:29], v30, s[0:3], 0 offen
	s_nop 0
	buffer_load_dwordx4 v[30:33], v50, s[0:3], 0 offen
	buffer_load_dwordx4 v[34:37], v142, s[0:3], 0 offen offset:48
	buffer_load_dwordx4 v[38:41], v142, s[0:3], 0 offen offset:32
	;; [unrolled: 1-line block ×4, first 2 shown]
	v_subrev_u32_e32 v50, 32, v71
	v_add_u32_e32 v63, -16, v71
	v_lshlrev_b32_e32 v73, 3, v62
	v_or_b32_e32 v145, 1, v138
	v_or_b32_e32 v74, 1, v153
	v_add_u32_e32 v146, 0x4c, v70
	v_add_lshl_u32 v130, v72, s20, 3
	buffer_load_dwordx4 v[50:53], v50, s[0:3], 0 offen
	v_lshlrev_b32_e32 v143, 3, v140
	v_add_lshl_u32 v102, v140, s20, 3
	buffer_load_dwordx4 v[54:57], v71, s[0:3], 0 offen offset:16
	buffer_load_dwordx4 v[58:61], v63, s[0:3], 0 offen
	s_nop 0
	buffer_load_dwordx4 v[62:65], v73, s[0:3], 0 offen
	buffer_load_dwordx4 v[66:69], v71, s[0:3], 0 offen
	s_lshl_b32 s6, s7, 3
	s_mov_b32 s7, s3
	v_lshlrev_b32_e32 v122, 3, v72
	v_xor_b32_e32 v131, v145, v153
	v_xor_b32_e32 v148, v145, v74
	buffer_load_dwordx4 v[70:73], v142, s[0:3], 0 offen offset:112
	v_lshlrev_b32_e32 v150, 3, v146
	buffer_store_dword v74, off, s[28:31], 0 offset:652 ; 4-byte Folded Spill
	v_subrev_u32_e32 v90, 48, v130
	v_add_u32_e32 v91, 0xffffffb0, v130
	v_subrev_u32_e32 v103, 32, v130
	v_subrev_u32_e32 v104, 64, v130
	v_add_u32_e32 v134, -16, v130
	v_xor_b32_e32 v149, v74, v138
	buffer_load_dwordx4 v[74:77], v143, s[4:7], 0 offen
	buffer_load_dwordx4 v[78:81], v143, s[4:7], 0 offen offset:16
	buffer_load_dwordx4 v[82:85], v90, s[4:7], 0 offen
	buffer_load_dwordx4 v[86:89], v91, s[4:7], 0 offen
	s_nop 0
	buffer_load_dwordx4 v[90:93], v102, s[4:7], 0 offen
	buffer_load_dwordx4 v[94:97], v103, s[4:7], 0 offen
	;; [unrolled: 1-line block ×3, first 2 shown]
                                        ; kill: killed $vgpr104
                                        ; kill: killed $vgpr103
                                        ; kill: killed $vgpr102
	s_nop 0
	buffer_load_dwordx4 v[102:105], v143, s[4:7], 0 offen offset:32
	buffer_load_dwordx4 v[106:109], v143, s[4:7], 0 offen offset:48
	;; [unrolled: 1-line block ×5, first 2 shown]
	s_nop 0
	buffer_load_dwordx4 v[122:125], v122, s[4:7], 0 offen
	s_nop 0
	buffer_load_dwordx4 v[126:129], v130, s[4:7], 0 offen
	v_sub_u32_e32 v151, v131, v219
	v_sub_u32_e32 v152, v148, v131
	buffer_load_dwordx4 v[130:133], v130, s[4:7], 0 offen offset:16
	s_nop 0
	buffer_load_dwordx4 v[134:137], v134, s[4:7], 0 offen
	v_lshlrev_b32_e32 v144, 3, v139
	buffer_load_dwordx4 v[154:157], v150, s[0:3], 0 offen
	v_or_b32_e32 v147, 16, v144
	v_lshlrev_b32_e32 v150, 5, v151
	v_lshl_add_u32 v139, v151, 2, v139
	v_lshlrev_b32_e32 v151, 5, v152
	v_add_u32_e32 v147, v147, v150
	v_sub_u32_e32 v148, v149, v148
	v_lshl_add_u32 v139, v152, 2, v139
	v_add_u32_e32 v152, v147, v151
	v_lshl_add_u32 v139, v148, 2, v139
                                        ; kill: killed $vgpr142
                                        ; kill: killed $vgpr143
	s_mov_b32 s18, 0x8010
	s_mov_b32 s22, 0x8000
	s_waitcnt vmcnt(0)
	buffer_store_dword v154, off, s[28:31], 0 offset:324 ; 4-byte Folded Spill
	s_nop 0
	buffer_store_dword v155, off, s[28:31], 0 offset:328 ; 4-byte Folded Spill
	buffer_store_dword v156, off, s[28:31], 0 offset:332 ; 4-byte Folded Spill
	;; [unrolled: 1-line block ×3, first 2 shown]
	ds_write_b128 v144, v[10:13]
	ds_write_b128 v144, v[14:17] offset:16
	ds_write_b128 v147, v[22:25] offset:496
	;; [unrolled: 1-line block ×5, first 2 shown]
	v_or_b32_e32 v16, 2, v153
	v_lshlrev_b32_e32 v10, 5, v148
	v_xor_b32_e32 v13, v16, v138
	v_add_u32_e32 v11, v152, v10
	v_sub_u32_e32 v14, v13, v149
	v_add_u32_e32 v12, -16, v11
	v_lshlrev_b32_e32 v15, 5, v14
	ds_write_b128 v12, v[38:41]
	v_add_u32_e32 v12, v12, v15
	v_or_b32_e32 v19, 3, v153
	ds_write_b128 v11, v[34:37]
	ds_write_b128 v12, v[42:45]
	v_lshl_add_u32 v12, v14, 2, v139
	v_xor_b32_e32 v14, v16, v145
	v_xor_b32_e32 v17, v145, v19
	v_sub_u32_e32 v13, v14, v13
	v_sub_u32_e32 v14, v17, v14
	v_add_u32_e32 v11, v11, v15
	buffer_store_dword v16, off, s[28:31], 0 offset:656 ; 4-byte Folded Spill
	v_lshlrev_b32_e32 v16, 2, v13
	v_lshlrev_b32_e32 v18, 2, v14
	;; [unrolled: 1-line block ×3, first 2 shown]
	ds_write_b128 v11, v[46:49]
	v_add3_u32 v12, v16, v12, v18
	v_add_u32_e32 v11, v11, v13
	v_lshlrev_b32_e32 v14, 5, v14
	v_xor_b32_e32 v16, v19, v138
	buffer_store_dword v153, off, s[28:31], 0 offset:304 ; 4-byte Folded Spill
	ds_write_b128 v11, v[58:61] offset:512
	ds_write_b128 v11, v[50:53] offset:496
	v_add_u32_e32 v11, v11, v14
	v_sub_u32_e32 v17, v16, v17
	v_sub_u32_e32 v16, v219, v16
	ds_write_b128 v11, v[66:69] offset:496
	ds_write_b128 v11, v[54:57] offset:512
	buffer_store_dword v19, off, s[28:31], 0 offset:660 ; 4-byte Folded Spill
	v_lshlrev_b32_e32 v18, 2, v17
	v_lshlrev_b32_e32 v16, 2, v16
	v_add3_u32 v233, v12, v18, v16
	v_lshlrev_b32_e32 v12, 5, v17
	buffer_load_dwordx4 v[16:19], v142, s[0:3], 0 offen offset:512
	v_add_u32_e32 v11, v11, v12
	s_waitcnt vmcnt(0)
	buffer_store_dword v16, off, s[28:31], 0 offset:564 ; 4-byte Folded Spill
	s_nop 0
	buffer_store_dword v17, off, s[28:31], 0 offset:568 ; 4-byte Folded Spill
	buffer_store_dword v18, off, s[28:31], 0 offset:572 ; 4-byte Folded Spill
	;; [unrolled: 1-line block ×3, first 2 shown]
	ds_write_b128 v11, v[70:73]
	v_add_u32_e32 v11, -16, v11
	ds_write_b128 v11, v[62:65]
	ds_write_b128 v144, v[74:77] offset:32768
	v_or_b32_e32 v11, 0x8010, v144
	v_add_u32_e32 v11, v11, v150
	ds_write_b128 v144, v[78:81] offset:32784
	ds_write_b128 v11, v[86:89] offset:512
	v_add_u32_e32 v16, 0x4c, v140
	ds_write_b128 v11, v[90:93] offset:496
	v_add_u32_e32 v11, v11, v151
	v_lshlrev_b32_e32 v17, 3, v16
	v_add_u32_e32 v10, v11, v10
	buffer_load_dwordx4 v[234:237], v17, s[4:7], 0 offen
	ds_write_b128 v11, v[98:101] offset:496
	ds_write_b128 v11, v[82:85] offset:512
	v_add_u32_e32 v11, -16, v10
	ds_write_b128 v10, v[106:109]
	ds_write_b128 v11, v[102:105]
	v_add_u32_e32 v11, v11, v15
	v_add_u32_e32 v10, v10, v15
	ds_write_b128 v11, v[110:113]
	ds_write_b128 v10, v[114:117]
	v_add_u32_e32 v10, v10, v13
	ds_write_b128 v10, v[134:137] offset:512
	ds_write_b128 v10, v[94:97] offset:496
	v_add_u32_e32 v10, v10, v14
	ds_write_b128 v10, v[126:129] offset:496
	ds_write_b128 v10, v[130:133] offset:512
	v_add_u32_e32 v10, v10, v12
	buffer_load_dwordx4 v[12:15], v143, s[4:7], 0 offen offset:512
	s_waitcnt vmcnt(0)
	buffer_store_dword v12, off, s[28:31], 0 offset:308 ; 4-byte Folded Spill
	s_nop 0
	buffer_store_dword v13, off, s[28:31], 0 offset:312 ; 4-byte Folded Spill
	buffer_store_dword v14, off, s[28:31], 0 offset:316 ; 4-byte Folded Spill
	;; [unrolled: 1-line block ×3, first 2 shown]
	ds_write_b128 v10, v[118:121]
	v_add_u32_e32 v10, -16, v10
	ds_write_b128 v10, v[122:125]
	buffer_load_dwordx4 v[70:73], v142, s[0:3], 0 offen offset:528
	buffer_load_dwordx4 v[250:253], v142, s[0:3], 0 offen offset:544
	;; [unrolled: 1-line block ×4, first 2 shown]
	s_waitcnt vmcnt(0)
	buffer_store_dword v10, off, s[28:31], 0 offset:420 ; 4-byte Folded Spill
	s_nop 0
	buffer_store_dword v11, off, s[28:31], 0 offset:424 ; 4-byte Folded Spill
	buffer_store_dword v12, off, s[28:31], 0 offset:428 ; 4-byte Folded Spill
	;; [unrolled: 1-line block ×3, first 2 shown]
	buffer_load_dwordx4 v[10:13], v142, s[0:3], 0 offen offset:592
	s_waitcnt vmcnt(0)
	buffer_store_dword v10, off, s[28:31], 0 offset:436 ; 4-byte Folded Spill
	s_nop 0
	buffer_store_dword v11, off, s[28:31], 0 offset:440 ; 4-byte Folded Spill
	buffer_store_dword v12, off, s[28:31], 0 offset:444 ; 4-byte Folded Spill
	;; [unrolled: 1-line block ×3, first 2 shown]
	buffer_load_dwordx4 v[10:13], v142, s[0:3], 0 offen offset:624
	s_waitcnt vmcnt(0)
	buffer_store_dword v10, off, s[28:31], 0 offset:404 ; 4-byte Folded Spill
	s_nop 0
	buffer_store_dword v11, off, s[28:31], 0 offset:408 ; 4-byte Folded Spill
	buffer_store_dword v12, off, s[28:31], 0 offset:412 ; 4-byte Folded Spill
	;; [unrolled: 1-line block ×3, first 2 shown]
	v_add_lshl_u32 v10, v146, s19, 3
	buffer_load_dwordx4 v[12:15], v10, s[0:3], 0 offen
	s_waitcnt vmcnt(0)
	buffer_store_dword v12, off, s[28:31], 0 offset:452 ; 4-byte Folded Spill
	s_nop 0
	buffer_store_dword v13, off, s[28:31], 0 offset:456 ; 4-byte Folded Spill
	buffer_store_dword v14, off, s[28:31], 0 offset:460 ; 4-byte Folded Spill
	buffer_store_dword v15, off, s[28:31], 0 offset:464 ; 4-byte Folded Spill
	buffer_load_dwordx4 v[12:15], v10, s[0:3], 0 offen offset:16
	s_waitcnt vmcnt(0)
	buffer_store_dword v12, off, s[28:31], 0 offset:468 ; 4-byte Folded Spill
	s_nop 0
	buffer_store_dword v13, off, s[28:31], 0 offset:472 ; 4-byte Folded Spill
	buffer_store_dword v14, off, s[28:31], 0 offset:476 ; 4-byte Folded Spill
	;; [unrolled: 1-line block ×3, first 2 shown]
	v_add_u32_e32 v11, -16, v10
	buffer_load_dwordx4 v[18:21], v11, s[0:3], 0 offen
	v_subrev_u32_e32 v12, 32, v10
	s_waitcnt vmcnt(0)
	buffer_store_dword v18, off, s[28:31], 0 offset:484 ; 4-byte Folded Spill
	s_nop 0
	buffer_store_dword v19, off, s[28:31], 0 offset:488 ; 4-byte Folded Spill
	buffer_store_dword v20, off, s[28:31], 0 offset:492 ; 4-byte Folded Spill
	buffer_store_dword v21, off, s[28:31], 0 offset:496 ; 4-byte Folded Spill
	buffer_load_dwordx4 v[18:21], v12, s[0:3], 0 offen
	s_waitcnt vmcnt(0)
	buffer_store_dword v18, off, s[28:31], 0 offset:500 ; 4-byte Folded Spill
	s_nop 0
	buffer_store_dword v19, off, s[28:31], 0 offset:504 ; 4-byte Folded Spill
	buffer_store_dword v20, off, s[28:31], 0 offset:508 ; 4-byte Folded Spill
	;; [unrolled: 1-line block ×3, first 2 shown]
                                        ; kill: killed $vgpr11
	v_subrev_u32_e32 v11, 64, v10
	buffer_load_dwordx4 v[18:21], v11, s[0:3], 0 offen
                                        ; kill: killed $vgpr12
	v_subrev_u32_e32 v12, 48, v10
	s_waitcnt vmcnt(0)
	buffer_store_dword v18, off, s[28:31], 0 offset:516 ; 4-byte Folded Spill
	s_nop 0
	buffer_store_dword v19, off, s[28:31], 0 offset:520 ; 4-byte Folded Spill
	buffer_store_dword v20, off, s[28:31], 0 offset:524 ; 4-byte Folded Spill
	;; [unrolled: 1-line block ×3, first 2 shown]
	buffer_load_dwordx4 v[18:21], v12, s[0:3], 0 offen
	s_waitcnt vmcnt(0)
	buffer_store_dword v18, off, s[28:31], 0 offset:548 ; 4-byte Folded Spill
	s_nop 0
	buffer_store_dword v19, off, s[28:31], 0 offset:552 ; 4-byte Folded Spill
	buffer_store_dword v20, off, s[28:31], 0 offset:556 ; 4-byte Folded Spill
	;; [unrolled: 1-line block ×3, first 2 shown]
                                        ; kill: killed $vgpr11
	v_add_u32_e32 v11, 0xffffffb0, v10
                                        ; kill: killed $vgpr12
	buffer_load_dwordx4 v[12:15], v11, s[0:3], 0 offen
	v_add_u32_e32 v10, 0xffffffa0, v10
	s_waitcnt vmcnt(0)
	buffer_store_dword v12, off, s[28:31], 0 offset:532 ; 4-byte Folded Spill
	s_nop 0
	buffer_store_dword v13, off, s[28:31], 0 offset:536 ; 4-byte Folded Spill
	buffer_store_dword v14, off, s[28:31], 0 offset:540 ; 4-byte Folded Spill
	;; [unrolled: 1-line block ×3, first 2 shown]
	buffer_load_dwordx4 v[114:117], v10, s[0:3], 0 offen
	s_nop 0
	buffer_load_dwordx4 v[12:15], v143, s[4:7], 0 offen offset:528
	s_waitcnt vmcnt(0)
	buffer_store_dword v12, off, s[28:31], 0 offset:356 ; 4-byte Folded Spill
	s_nop 0
	buffer_store_dword v13, off, s[28:31], 0 offset:360 ; 4-byte Folded Spill
	buffer_store_dword v14, off, s[28:31], 0 offset:364 ; 4-byte Folded Spill
	buffer_store_dword v15, off, s[28:31], 0 offset:368 ; 4-byte Folded Spill
	buffer_load_dwordx4 v[12:15], v143, s[4:7], 0 offen offset:544
	s_waitcnt vmcnt(0)
	buffer_store_dword v12, off, s[28:31], 0 offset:340 ; 4-byte Folded Spill
	s_nop 0
	buffer_store_dword v13, off, s[28:31], 0 offset:344 ; 4-byte Folded Spill
	buffer_store_dword v14, off, s[28:31], 0 offset:348 ; 4-byte Folded Spill
	buffer_store_dword v15, off, s[28:31], 0 offset:352 ; 4-byte Folded Spill
	;; [unrolled: 7-line block ×4, first 2 shown]
	buffer_load_dwordx4 v[12:15], v143, s[4:7], 0 offen offset:592
                                        ; kill: killed $vgpr10
	v_add_lshl_u32 v10, v16, s20, 3
	s_waitcnt vmcnt(0)
	buffer_store_dword v12, off, s[28:31], 0 offset:580 ; 4-byte Folded Spill
	s_nop 0
	buffer_store_dword v13, off, s[28:31], 0 offset:584 ; 4-byte Folded Spill
	buffer_store_dword v14, off, s[28:31], 0 offset:588 ; 4-byte Folded Spill
	;; [unrolled: 1-line block ×3, first 2 shown]
                                        ; kill: killed $vgpr11
	v_add_u32_e32 v11, -16, v10
	buffer_load_dwordx4 v[206:209], v143, s[4:7], 0 offen offset:624
	buffer_load_dwordx4 v[214:217], v10, s[4:7], 0 offen
	buffer_load_dwordx4 v[90:93], v10, s[4:7], 0 offen offset:16
	v_subrev_u32_e32 v12, 32, v10
	buffer_load_dwordx4 v[202:205], v11, s[4:7], 0 offen
	buffer_load_dwordx4 v[78:81], v12, s[4:7], 0 offen
	v_subrev_u32_e32 v11, 64, v10
	v_subrev_u32_e32 v12, 48, v10
	buffer_load_dwordx4 v[98:101], v11, s[4:7], 0 offen
	buffer_load_dwordx4 v[106:109], v12, s[4:7], 0 offen
	v_add_u32_e32 v11, 0xffffffb0, v10
	v_add_u32_e32 v10, 0xffffffa0, v10
	buffer_load_dwordx4 v[102:105], v11, s[4:7], 0 offen
	buffer_load_dwordx4 v[238:241], v10, s[4:7], 0 offen
	v_add_u16_e32 v10, 32, v141
	v_ashrrev_i16_e32 v12, 15, v10
	v_add_u16_e32 v14, 16, v9
	v_mov_b32_e32 v15, 11
	v_lshrrev_b16_e32 v12, 12, v12
	v_lshrrev_b16_sdwa v16, v15, sext(v14) dst_sel:DWORD dst_unused:UNUSED_PAD src0_sel:DWORD src1_sel:BYTE_0
	v_add_u16_e32 v12, v10, v12
	v_and_b32_e32 v16, 15, v16
	v_and_b32_e32 v12, -16, v12
	v_add_u16_e32 v16, v14, v16
	v_sub_u16_e32 v12, v10, v12
	v_and_b32_e32 v16, 0xf0, v16
	v_xor_b32_sdwa v10, v7, sext(v12) dst_sel:DWORD dst_unused:UNUSED_PAD src0_sel:DWORD src1_sel:WORD_0
	v_sub_u16_e32 v14, v14, v16
	v_lshlrev_b32_e32 v11, 9, v141
	v_sub_u32_e32 v10, v10, v6
	v_lshlrev_b32_e32 v13, 9, v9
	v_xor_b32_sdwa v16, v7, sext(v14) dst_sel:DWORD dst_unused:UNUSED_PAD src0_sel:DWORD src1_sel:BYTE_0
	v_add_u16_e32 v9, 32, v9
	v_lshl_add_u32 v18, v6, 5, v11
	v_lshlrev_b32_e32 v10, 5, v10
	v_lshl_add_u32 v25, v4, 5, v13
	v_sub_u32_e32 v16, v16, v4
	v_lshrrev_b16_sdwa v15, v15, sext(v9) dst_sel:DWORD dst_unused:UNUSED_PAD src0_sel:DWORD src1_sel:BYTE_0
	v_add_u32_e32 v19, v18, v10
	v_add_u32_e32 v10, 0x8000, v25
	v_lshlrev_b32_e32 v16, 5, v16
	v_and_b32_e32 v15, 15, v15
	s_waitcnt lgkmcnt(0)
	s_barrier
	buffer_store_dword v16, off, s[28:31], 0 offset:672 ; 4-byte Folded Spill
	v_add_u32_e32 v16, v10, v16
	v_add_u16_e32 v15, v9, v15
	ds_read_b128 v[118:121], v16 offset:8192
	ds_read_b128 v[20:23], v16 offset:8208
	v_and_b32_e32 v15, 0xf0, v15
	v_sub_u16_e32 v9, v9, v15
	v_xor_b32_sdwa v15, v7, sext(v9) dst_sel:DWORD dst_unused:UNUSED_PAD src0_sel:DWORD src1_sel:BYTE_0
	v_sub_u32_e32 v15, v15, v4
	v_lshlrev_b32_e32 v15, 5, v15
	s_waitcnt lgkmcnt(0)
	buffer_store_dword v20, off, s[28:31], 0 ; 4-byte Folded Spill
	s_nop 0
	buffer_store_dword v21, off, s[28:31], 0 offset:4 ; 4-byte Folded Spill
	buffer_store_dword v22, off, s[28:31], 0 offset:8 ; 4-byte Folded Spill
	;; [unrolled: 1-line block ×4, first 2 shown]
	v_add_u32_e32 v15, v10, v15
	ds_read_b128 v[130:133], v15 offset:16384
	ds_read_b128 v[20:23], v15 offset:16400
	v_and_b32_e32 v17, 15, v198
	v_xor_b32_e32 v15, v7, v17
	v_sub_u32_e32 v15, v15, v4
	v_lshlrev_b32_e32 v15, 5, v15
	s_waitcnt lgkmcnt(0)
	buffer_store_dword v20, off, s[28:31], 0 offset:32 ; 4-byte Folded Spill
	s_nop 0
	buffer_store_dword v21, off, s[28:31], 0 offset:36 ; 4-byte Folded Spill
	buffer_store_dword v22, off, s[28:31], 0 offset:40 ; 4-byte Folded Spill
	;; [unrolled: 1-line block ×4, first 2 shown]
	v_add_u32_e32 v15, v10, v15
	ds_read_b128 v[134:137], v15 offset:24576
	ds_read_b128 v[126:129], v15 offset:24592
	v_or_b32_e32 v15, 1, v7
	v_xor_b32_sdwa v16, v15, sext(v8) dst_sel:DWORD dst_unused:UNUSED_PAD src0_sel:DWORD src1_sel:WORD_0
	v_lshl_add_u32 v20, v16, 5, v11
	v_xor_b32_sdwa v16, v15, sext(v12) dst_sel:DWORD dst_unused:UNUSED_PAD src0_sel:DWORD src1_sel:WORD_0
	v_sub_u32_e32 v16, v16, v6
	v_lshlrev_b32_e32 v16, 5, v16
	v_add_u32_e32 v21, v18, v16
	v_xor_b32_sdwa v16, v15, sext(v5) dst_sel:DWORD dst_unused:UNUSED_PAD src0_sel:DWORD src1_sel:BYTE_0
	v_lshl_add_u32 v22, v16, 5, v13
	v_xor_b32_sdwa v16, v15, sext(v14) dst_sel:DWORD dst_unused:UNUSED_PAD src0_sel:DWORD src1_sel:BYTE_0
	v_sub_u32_e32 v16, v16, v4
	v_lshlrev_b32_e32 v16, 5, v16
	buffer_store_dword v16, off, s[28:31], 0 offset:696 ; 4-byte Folded Spill
	v_add_u32_e32 v16, v10, v16
	ds_read_b128 v[26:29], v16 offset:8192
	s_waitcnt lgkmcnt(0)
	buffer_store_dword v26, off, s[28:31], 0 offset:112 ; 4-byte Folded Spill
	s_nop 0
	buffer_store_dword v27, off, s[28:31], 0 offset:116 ; 4-byte Folded Spill
	buffer_store_dword v28, off, s[28:31], 0 offset:120 ; 4-byte Folded Spill
	;; [unrolled: 1-line block ×3, first 2 shown]
	ds_read_b128 v[210:213], v16 offset:8208
	v_xor_b32_sdwa v16, v15, sext(v9) dst_sel:DWORD dst_unused:UNUSED_PAD src0_sel:DWORD src1_sel:BYTE_0
	v_sub_u32_e32 v16, v16, v4
	v_lshlrev_b32_e32 v16, 5, v16
	buffer_store_dword v16, off, s[28:31], 0 offset:700 ; 4-byte Folded Spill
	v_add_u32_e32 v16, v10, v16
	ds_read_b128 v[26:29], v16 offset:16384
	s_waitcnt lgkmcnt(0)
	buffer_store_dword v26, off, s[28:31], 0 offset:208 ; 4-byte Folded Spill
	s_nop 0
	buffer_store_dword v27, off, s[28:31], 0 offset:212 ; 4-byte Folded Spill
	buffer_store_dword v28, off, s[28:31], 0 offset:216 ; 4-byte Folded Spill
	;; [unrolled: 1-line block ×3, first 2 shown]
	ds_read_b128 v[26:29], v16 offset:16400
	v_xor_b32_e32 v15, v15, v17
	v_sub_u32_e32 v15, v15, v4
	v_lshlrev_b32_e32 v15, 5, v15
	s_waitcnt lgkmcnt(0)
	buffer_store_dword v26, off, s[28:31], 0 offset:128 ; 4-byte Folded Spill
	s_nop 0
	buffer_store_dword v27, off, s[28:31], 0 offset:132 ; 4-byte Folded Spill
	buffer_store_dword v28, off, s[28:31], 0 offset:136 ; 4-byte Folded Spill
	;; [unrolled: 1-line block ×4, first 2 shown]
	v_add_u32_e32 v15, v10, v15
	ds_read_b128 v[26:29], v15 offset:24576
	s_waitcnt lgkmcnt(0)
	buffer_store_dword v26, off, s[28:31], 0 offset:176 ; 4-byte Folded Spill
	s_nop 0
	buffer_store_dword v27, off, s[28:31], 0 offset:180 ; 4-byte Folded Spill
	buffer_store_dword v28, off, s[28:31], 0 offset:184 ; 4-byte Folded Spill
	;; [unrolled: 1-line block ×3, first 2 shown]
	ds_read_b128 v[26:29], v15 offset:24592
	v_or_b32_e32 v15, 2, v7
	v_xor_b32_sdwa v16, v15, sext(v8) dst_sel:DWORD dst_unused:UNUSED_PAD src0_sel:DWORD src1_sel:WORD_0
	v_lshl_add_u32 v23, v16, 5, v11
	v_xor_b32_sdwa v16, v15, sext(v12) dst_sel:DWORD dst_unused:UNUSED_PAD src0_sel:DWORD src1_sel:WORD_0
	v_sub_u32_e32 v16, v16, v6
	v_lshlrev_b32_e32 v16, 5, v16
	s_waitcnt lgkmcnt(0)
	buffer_store_dword v26, off, s[28:31], 0 offset:96 ; 4-byte Folded Spill
	s_nop 0
	buffer_store_dword v27, off, s[28:31], 0 offset:100 ; 4-byte Folded Spill
	buffer_store_dword v28, off, s[28:31], 0 offset:104 ; 4-byte Folded Spill
	;; [unrolled: 1-line block ×3, first 2 shown]
	v_add_u32_e32 v24, v18, v16
	v_xor_b32_sdwa v16, v15, sext(v5) dst_sel:DWORD dst_unused:UNUSED_PAD src0_sel:DWORD src1_sel:BYTE_0
	v_lshl_add_u32 v26, v16, 5, v13
	v_xor_b32_sdwa v16, v15, sext(v14) dst_sel:DWORD dst_unused:UNUSED_PAD src0_sel:DWORD src1_sel:BYTE_0
	v_sub_u32_e32 v16, v16, v4
	v_lshlrev_b32_e32 v16, 5, v16
	buffer_store_dword v16, off, s[28:31], 0 offset:724 ; 4-byte Folded Spill
	v_add_u32_e32 v16, v10, v16
	ds_read_b128 v[28:31], v16 offset:8192
	s_waitcnt lgkmcnt(0)
	buffer_store_dword v28, off, s[28:31], 0 offset:64 ; 4-byte Folded Spill
	s_nop 0
	buffer_store_dword v29, off, s[28:31], 0 offset:68 ; 4-byte Folded Spill
	buffer_store_dword v30, off, s[28:31], 0 offset:72 ; 4-byte Folded Spill
	;; [unrolled: 1-line block ×3, first 2 shown]
	ds_read_b128 v[242:245], v16 offset:8208
	v_xor_b32_sdwa v16, v15, sext(v9) dst_sel:DWORD dst_unused:UNUSED_PAD src0_sel:DWORD src1_sel:BYTE_0
	v_sub_u32_e32 v16, v16, v4
	v_lshlrev_b32_e32 v16, 5, v16
	buffer_store_dword v16, off, s[28:31], 0 offset:728 ; 4-byte Folded Spill
	v_add_u32_e32 v16, v10, v16
	ds_read_b128 v[28:31], v16 offset:16384
	s_waitcnt lgkmcnt(0)
	buffer_store_dword v28, off, s[28:31], 0 offset:192 ; 4-byte Folded Spill
	s_nop 0
	buffer_store_dword v29, off, s[28:31], 0 offset:196 ; 4-byte Folded Spill
	buffer_store_dword v30, off, s[28:31], 0 offset:200 ; 4-byte Folded Spill
	;; [unrolled: 1-line block ×3, first 2 shown]
	ds_read_b128 v[28:31], v16 offset:16400
	v_xor_b32_e32 v15, v15, v17
	v_sub_u32_e32 v15, v15, v4
	v_lshlrev_b32_e32 v15, 5, v15
	s_waitcnt lgkmcnt(0)
	buffer_store_dword v28, off, s[28:31], 0 offset:80 ; 4-byte Folded Spill
	s_nop 0
	buffer_store_dword v29, off, s[28:31], 0 offset:84 ; 4-byte Folded Spill
	buffer_store_dword v30, off, s[28:31], 0 offset:88 ; 4-byte Folded Spill
	;; [unrolled: 1-line block ×4, first 2 shown]
	v_add_u32_e32 v15, v10, v15
	ds_read_b128 v[28:31], v15 offset:24576
	s_waitcnt lgkmcnt(0)
	buffer_store_dword v28, off, s[28:31], 0 offset:160 ; 4-byte Folded Spill
	s_nop 0
	buffer_store_dword v29, off, s[28:31], 0 offset:164 ; 4-byte Folded Spill
	buffer_store_dword v30, off, s[28:31], 0 offset:168 ; 4-byte Folded Spill
	;; [unrolled: 1-line block ×3, first 2 shown]
	v_or_b32_e32 v7, 3, v7
	ds_read_b128 v[28:31], v15 offset:24592
	v_xor_b32_sdwa v8, v7, sext(v8) dst_sel:DWORD dst_unused:UNUSED_PAD src0_sel:DWORD src1_sel:WORD_0
	v_lshl_add_u32 v11, v8, 5, v11
	v_xor_b32_sdwa v8, v7, sext(v12) dst_sel:DWORD dst_unused:UNUSED_PAD src0_sel:DWORD src1_sel:WORD_0
	v_xor_b32_sdwa v5, v7, sext(v5) dst_sel:DWORD dst_unused:UNUSED_PAD src0_sel:DWORD src1_sel:BYTE_0
	v_sub_u32_e32 v6, v8, v6
	v_lshl_add_u32 v8, v5, 5, v13
	v_xor_b32_sdwa v5, v7, sext(v14) dst_sel:DWORD dst_unused:UNUSED_PAD src0_sel:DWORD src1_sel:BYTE_0
	v_sub_u32_e32 v5, v5, v4
	v_lshlrev_b32_e32 v5, 5, v5
	s_waitcnt lgkmcnt(0)
	buffer_store_dword v28, off, s[28:31], 0 offset:48 ; 4-byte Folded Spill
	s_nop 0
	buffer_store_dword v29, off, s[28:31], 0 offset:52 ; 4-byte Folded Spill
	buffer_store_dword v30, off, s[28:31], 0 offset:56 ; 4-byte Folded Spill
	;; [unrolled: 1-line block ×4, first 2 shown]
	v_add_u32_e32 v5, v10, v5
	ds_read_b128 v[142:145], v5 offset:8192
	ds_read_b128 v[138:141], v5 offset:8208
	v_xor_b32_sdwa v5, v7, sext(v9) dst_sel:DWORD dst_unused:UNUSED_PAD src0_sel:DWORD src1_sel:BYTE_0
	v_sub_u32_e32 v5, v5, v4
	v_lshlrev_b32_e32 v5, 5, v5
	buffer_store_dword v5, off, s[28:31], 0 offset:752 ; 4-byte Folded Spill
	v_add_u32_e32 v5, v10, v5
	ds_read_b128 v[12:15], v5 offset:16384
	s_waitcnt lgkmcnt(0)
	buffer_store_dword v12, off, s[28:31], 0 offset:224 ; 4-byte Folded Spill
	s_nop 0
	buffer_store_dword v13, off, s[28:31], 0 offset:228 ; 4-byte Folded Spill
	buffer_store_dword v14, off, s[28:31], 0 offset:232 ; 4-byte Folded Spill
	;; [unrolled: 1-line block ×3, first 2 shown]
	ds_read_b128 v[12:15], v5 offset:16400
	v_xor_b32_e32 v5, v7, v17
	v_sub_u32_e32 v4, v5, v4
	v_lshlrev_b32_e32 v4, 5, v4
	s_waitcnt lgkmcnt(0)
	buffer_store_dword v12, off, s[28:31], 0 offset:16 ; 4-byte Folded Spill
	s_nop 0
	buffer_store_dword v13, off, s[28:31], 0 offset:20 ; 4-byte Folded Spill
	buffer_store_dword v14, off, s[28:31], 0 offset:24 ; 4-byte Folded Spill
	;; [unrolled: 1-line block ×5, first 2 shown]
	v_add_u32_e32 v4, v10, v4
	ds_read_b128 v[12:15], v4 offset:24576
	s_waitcnt lgkmcnt(0)
	buffer_store_dword v12, off, s[28:31], 0 offset:144 ; 4-byte Folded Spill
	s_nop 0
	buffer_store_dword v13, off, s[28:31], 0 offset:148 ; 4-byte Folded Spill
	buffer_store_dword v14, off, s[28:31], 0 offset:152 ; 4-byte Folded Spill
	buffer_store_dword v15, off, s[28:31], 0 offset:156 ; 4-byte Folded Spill
	ds_read_b128 v[158:161], v4 offset:24592
	ds_read_b128 v[74:77], v18
	buffer_store_dword v18, off, s[28:31], 0 offset:664 ; 4-byte Folded Spill
	ds_read_b128 v[66:69], v18 offset:16
	ds_read_b128 v[246:249], v19 offset:16384
	buffer_store_dword v19, off, s[28:31], 0 offset:668 ; 4-byte Folded Spill
	ds_read_b128 v[220:223], v19 offset:16400
	ds_read_b128 v[186:189], v25 offset:32768
	buffer_store_dword v25, off, s[28:31], 0 offset:716 ; 4-byte Folded Spill
	ds_read_b128 v[122:125], v25 offset:32784
	ds_read_b128 v[194:197], v20
	buffer_store_dword v20, off, s[28:31], 0 offset:684 ; 4-byte Folded Spill
	ds_read_b128 v[190:193], v20 offset:16
	ds_read_b128 v[178:181], v21 offset:16384
	buffer_store_dword v21, off, s[28:31], 0 offset:688 ; 4-byte Folded Spill
	ds_read_b128 v[174:177], v21 offset:16400
	ds_read_b128 v[12:15], v22 offset:32768
	s_waitcnt lgkmcnt(0)
	buffer_store_dword v12, off, s[28:31], 0 offset:288 ; 4-byte Folded Spill
	s_nop 0
	buffer_store_dword v13, off, s[28:31], 0 offset:292 ; 4-byte Folded Spill
	buffer_store_dword v14, off, s[28:31], 0 offset:296 ; 4-byte Folded Spill
	;; [unrolled: 1-line block ×4, first 2 shown]
	ds_read_b128 v[12:15], v22 offset:32784
	s_waitcnt lgkmcnt(0)
	buffer_store_dword v12, off, s[28:31], 0 offset:272 ; 4-byte Folded Spill
	s_nop 0
	buffer_store_dword v13, off, s[28:31], 0 offset:276 ; 4-byte Folded Spill
	buffer_store_dword v14, off, s[28:31], 0 offset:280 ; 4-byte Folded Spill
	;; [unrolled: 1-line block ×4, first 2 shown]
	ds_read_b128 v[170:173], v23
	ds_read_b128 v[166:169], v23 offset:16
	ds_read_b128 v[154:157], v24 offset:16384
	buffer_store_dword v24, off, s[28:31], 0 offset:712 ; 4-byte Folded Spill
	ds_read_b128 v[150:153], v24 offset:16400
	ds_read_b128 v[12:15], v26 offset:32768
	s_waitcnt lgkmcnt(0)
	buffer_store_dword v12, off, s[28:31], 0 offset:256 ; 4-byte Folded Spill
	s_nop 0
	buffer_store_dword v13, off, s[28:31], 0 offset:260 ; 4-byte Folded Spill
	buffer_store_dword v14, off, s[28:31], 0 offset:264 ; 4-byte Folded Spill
	;; [unrolled: 1-line block ×4, first 2 shown]
	ds_read_b128 v[12:15], v26 offset:32784
	v_lshlrev_b32_e32 v6, 5, v6
	v_add_u32_e32 v6, v18, v6
	s_waitcnt lgkmcnt(0)
	buffer_store_dword v12, off, s[28:31], 0 offset:240 ; 4-byte Folded Spill
	s_nop 0
	buffer_store_dword v13, off, s[28:31], 0 offset:244 ; 4-byte Folded Spill
	buffer_store_dword v14, off, s[28:31], 0 offset:248 ; 4-byte Folded Spill
	buffer_store_dword v15, off, s[28:31], 0 offset:252 ; 4-byte Folded Spill
	buffer_store_dword v11, off, s[28:31], 0 offset:736 ; 4-byte Folded Spill
	ds_read_b128 v[110:113], v11
	ds_read_b128 v[82:85], v11 offset:16
	ds_read_b128 v[86:89], v6 offset:16384
	buffer_store_dword v6, off, s[28:31], 0 offset:740 ; 4-byte Folded Spill
	ds_read_b128 v[226:229], v6 offset:16400
	ds_read_b128 v[182:185], v8 offset:32768
	;; [unrolled: 1-line block ×3, first 2 shown]
	buffer_store_dword v8, off, s[28:31], 0 offset:744 ; 4-byte Folded Spill
	; sched_barrier mask(0x00000000)
	v_or_b32_e32 v0, 1, v0
	v_sub_u32_e32 v4, v0, v1
	v_lshlrev_b32_e32 v1, 6, v4
	buffer_store_dword v1, off, s[28:31], 0 offset:760 ; 4-byte Folded Spill
	buffer_store_dword v198, off, s[28:31], 0 offset:772 ; 4-byte Folded Spill
	v_and_b32_e32 v1, 3, v198
	v_lshlrev_b32_e32 v1, 7, v1
	buffer_store_dword v1, off, s[28:31], 0 offset:764 ; 4-byte Folded Spill
	v_add_lshl_u32 v255, v3, s20, 3
	v_lshlrev_b32_e32 v1, 3, v3
	v_add_u32_e32 v3, -1, v4
	s_add_i32 s23, s23, -1
	buffer_store_dword v3, off, s[28:31], 0 offset:768 ; 4-byte Folded Spill
	v_add_lshl_u32 v254, v2, s19, 3
	v_lshlrev_b32_e32 v232, 3, v2
	v_pk_mov_b32 v[2:3], 0, 0
	s_max_i32 s23, s23, 1
	v_mov_b32_e32 v200, v233
	v_pk_mov_b32 v[4:5], v[2:3], v[2:3] op_sel:[0,1]
	v_pk_mov_b32 v[6:7], v[2:3], v[2:3] op_sel:[0,1]
	v_pk_mov_b32 v[8:9], v[2:3], v[2:3] op_sel:[0,1]
	v_pk_mov_b32 v[26:27], v[2:3], v[2:3] op_sel:[0,1]
	v_pk_mov_b32 v[28:29], v[2:3], v[2:3] op_sel:[0,1]
	v_pk_mov_b32 v[30:31], v[2:3], v[2:3] op_sel:[0,1]
	v_pk_mov_b32 v[32:33], v[2:3], v[2:3] op_sel:[0,1]
	v_pk_mov_b32 v[10:11], v[2:3], v[2:3] op_sel:[0,1]
	v_pk_mov_b32 v[12:13], v[2:3], v[2:3] op_sel:[0,1]
	v_pk_mov_b32 v[14:15], v[2:3], v[2:3] op_sel:[0,1]
	v_pk_mov_b32 v[16:17], v[2:3], v[2:3] op_sel:[0,1]
	v_pk_mov_b32 v[18:19], v[2:3], v[2:3] op_sel:[0,1]
	v_pk_mov_b32 v[20:21], v[2:3], v[2:3] op_sel:[0,1]
	v_pk_mov_b32 v[22:23], v[2:3], v[2:3] op_sel:[0,1]
	v_pk_mov_b32 v[24:25], v[2:3], v[2:3] op_sel:[0,1]
	v_pk_mov_b32 v[34:35], v[2:3], v[2:3] op_sel:[0,1]
	v_pk_mov_b32 v[36:37], v[2:3], v[2:3] op_sel:[0,1]
	v_pk_mov_b32 v[38:39], v[2:3], v[2:3] op_sel:[0,1]
	v_pk_mov_b32 v[40:41], v[2:3], v[2:3] op_sel:[0,1]
	v_pk_mov_b32 v[42:43], v[2:3], v[2:3] op_sel:[0,1]
	v_pk_mov_b32 v[44:45], v[2:3], v[2:3] op_sel:[0,1]
	v_pk_mov_b32 v[46:47], v[2:3], v[2:3] op_sel:[0,1]
	v_pk_mov_b32 v[48:49], v[2:3], v[2:3] op_sel:[0,1]
	v_pk_mov_b32 v[50:51], v[2:3], v[2:3] op_sel:[0,1]
	v_pk_mov_b32 v[52:53], v[2:3], v[2:3] op_sel:[0,1]
	v_pk_mov_b32 v[54:55], v[2:3], v[2:3] op_sel:[0,1]
	v_pk_mov_b32 v[56:57], v[2:3], v[2:3] op_sel:[0,1]
	v_pk_mov_b32 v[58:59], v[2:3], v[2:3] op_sel:[0,1]
	v_pk_mov_b32 v[60:61], v[2:3], v[2:3] op_sel:[0,1]
	v_pk_mov_b32 v[62:63], v[2:3], v[2:3] op_sel:[0,1]
	v_pk_mov_b32 v[64:65], v[2:3], v[2:3] op_sel:[0,1]
.LBB2_11:                               ; =>This Inner Loop Header: Depth=1
	buffer_store_dword v234, off, s[28:31], 0 offset:636 ; 4-byte Folded Spill
	v_lshlrev_b32_e32 v199, 3, v200
	buffer_store_dword v235, off, s[28:31], 0 offset:640 ; 4-byte Folded Spill
	buffer_store_dword v236, off, s[28:31], 0 offset:644 ; 4-byte Folded Spill
	;; [unrolled: 1-line block ×3, first 2 shown]
	s_waitcnt lgkmcnt(0)
	s_barrier
	buffer_load_dword v162, off, s[28:31], 0 offset:564 ; 4-byte Folded Reload
	v_mfma_f64_16x16x4f64 v[58:65], v[74:75], v[186:187], v[58:65]
	v_ashrrev_i32_e32 v201, 31, v0
	ds_write_b128 v199, v[70:73] offset:16
	v_lshrrev_b32_e32 v201, 28, v201
	v_pk_mov_b32 v[70:71], v[90:91], v[90:91] op_sel:[0,1]
	v_add_u32_e32 v201, v0, v201
	v_pk_mov_b32 v[72:73], v[92:93], v[92:93] op_sel:[0,1]
	v_pk_mov_b32 v[92:93], v[80:81], v[80:81] op_sel:[0,1]
	v_mfma_f64_16x16x4f64 v[58:65], v[76:77], v[188:189], v[58:65]
	; sched_group_barrier mask(0x00000020) size(1) SyncID(0)
	v_and_b32_e32 v201, -16, v201
	v_pk_mov_b32 v[90:91], v[78:79], v[78:79] op_sel:[0,1]
	v_pk_mov_b32 v[78:79], v[202:203], v[202:203] op_sel:[0,1]
	;; [unrolled: 1-line block ×3, first 2 shown]
	v_sub_u32_e32 v202, v0, v201
	v_pk_mov_b32 v[236:237], v[212:213], v[212:213] op_sel:[0,1]
	v_pk_mov_b32 v[234:235], v[210:211], v[210:211] op_sel:[0,1]
	v_mfma_f64_16x16x4f64 v[58:65], v[66:67], v[122:123], v[58:65]
	buffer_load_dword v163, off, s[28:31], 0 offset:568 ; 4-byte Folded Reload
	; sched_group_barrier mask(0x00000008) size(3) SyncID(0)
	; sched_group_barrier mask(0x00000020) size(1) SyncID(0)
	v_mfma_f64_16x16x4f64 v[50:57], v[74:75], v[118:119], v[50:57]
	v_mfma_f64_16x16x4f64 v[58:65], v[68:69], v[124:125], v[58:65]
	v_mfma_f64_16x16x4f64 v[50:57], v[76:77], v[120:121], v[50:57]
	buffer_load_dword v164, off, s[28:31], 0 offset:572 ; 4-byte Folded Reload
	; sched_group_barrier mask(0x00000008) size(3) SyncID(0)
	; sched_group_barrier mask(0x00000020) size(1) SyncID(0)
	v_mfma_f64_16x16x4f64 v[42:49], v[74:75], v[130:131], v[42:49]
	v_mfma_f64_16x16x4f64 v[34:41], v[74:75], v[134:135], v[34:41]
	;; [unrolled: 6-line block ×3, first 2 shown]
	v_mfma_f64_16x16x4f64 v[34:41], v[66:67], v[126:127], v[34:41]
	; sched_group_barrier mask(0x00000008) size(3) SyncID(0)
	s_waitcnt vmcnt(0)
	ds_write_b128 v199, v[162:165]
	buffer_load_dword v162, off, s[28:31], 0 offset:304 ; 4-byte Folded Reload
	v_mfma_f64_16x16x4f64 v[18:25], v[248:249], v[188:189], v[18:25]
	v_mfma_f64_16x16x4f64 v[34:41], v[68:69], v[128:129], v[34:41]
	; sched_group_barrier mask(0x00000020) size(1) SyncID(0)
	v_mfma_f64_16x16x4f64 v[18:25], v[220:221], v[122:123], v[18:25]
	; sched_group_barrier mask(0x00000008) size(3) SyncID(0)
	s_waitcnt vmcnt(0)
	v_xor_b32_e32 v201, v202, v162
	buffer_load_dword v162, off, s[28:31], 0 offset:760 ; 4-byte Folded Reload
	v_mfma_f64_16x16x4f64 v[26:33], v[246:247], v[130:131], v[26:33]
	v_mfma_f64_16x16x4f64 v[18:25], v[222:223], v[124:125], v[18:25]
	buffer_load_dword v122, off, s[28:31], 0 offset:176 ; 4-byte Folded Reload
	buffer_load_dword v123, off, s[28:31], 0 offset:180 ; 4-byte Folded Reload
	;; [unrolled: 1-line block ×4, first 2 shown]
	v_sub_u32_e32 v203, v201, v219
	; sched_group_barrier mask(0x00000020) size(1) SyncID(0)
	v_mfma_f64_16x16x4f64 v[26:33], v[248:249], v[132:133], v[26:33]
	buffer_load_dword v210, off, s[28:31], 0 offset:532 ; 4-byte Folded Reload
	v_mfma_f64_16x16x4f64 v[2:9], v[246:247], v[134:135], v[2:9]
	buffer_load_dword v130, off, s[28:31], 0 offset:272 ; 4-byte Folded Reload
	buffer_load_dword v131, off, s[28:31], 0 offset:276 ; 4-byte Folded Reload
	;; [unrolled: 1-line block ×4, first 2 shown]
	; sched_group_barrier mask(0x00000008) size(3) SyncID(0)
	; sched_group_barrier mask(0x00000020) size(1) SyncID(0)
	v_mfma_f64_16x16x4f64 v[2:9], v[248:249], v[136:137], v[2:9]
	buffer_load_dword v134, off, s[28:31], 0 offset:288 ; 4-byte Folded Reload
	buffer_load_dword v135, off, s[28:31], 0 offset:292 ; 4-byte Folded Reload
	;; [unrolled: 1-line block ×4, first 2 shown]
	v_mfma_f64_16x16x4f64 v[2:9], v[220:221], v[126:127], v[2:9]
	buffer_load_dword v211, off, s[28:31], 0 offset:536 ; 4-byte Folded Reload
	s_waitcnt vmcnt(3)
	v_mfma_f64_16x16x4f64 v[58:65], v[194:195], v[134:135], v[58:65]
	; sched_group_barrier mask(0x00000008) size(3) SyncID(0)
	; sched_group_barrier mask(0x00000020) size(1) SyncID(0)
	v_mfma_f64_16x16x4f64 v[2:9], v[222:223], v[128:129], v[2:9]
	buffer_load_dword v126, off, s[28:31], 0 offset:208 ; 4-byte Folded Reload
	buffer_load_dword v127, off, s[28:31], 0 offset:212 ; 4-byte Folded Reload
	;; [unrolled: 1-line block ×4, first 2 shown]
	v_lshl_add_u32 v203, v203, 2, v162
	v_lshlrev_b32_e32 v204, 3, v203
	v_add_u32_e32 v199, v199, v204
	ds_write_b128 v199, v[114:117]
	v_pk_mov_b32 v[114:115], v[206:207], v[206:207] op_sel:[0,1]
	v_pk_mov_b32 v[116:117], v[208:209], v[208:209] op_sel:[0,1]
	v_not_b32_e32 v162, 63
	s_waitcnt vmcnt(5)
	v_mfma_f64_16x16x4f64 v[58:65], v[196:197], v[136:137], v[58:65]
	buffer_load_dword v212, off, s[28:31], 0 offset:540 ; 4-byte Folded Reload
	v_mfma_f64_16x16x4f64 v[34:41], v[194:195], v[122:123], v[34:41]
	; sched_group_barrier mask(0x00000008) size(3) SyncID(0)
	; sched_group_barrier mask(0x00000020) size(1) SyncID(0)
	v_mfma_f64_16x16x4f64 v[58:65], v[190:191], v[130:131], v[58:65]
	v_mfma_f64_16x16x4f64 v[58:65], v[192:193], v[132:133], v[58:65]
	buffer_load_dword v213, off, s[28:31], 0 offset:544 ; 4-byte Folded Reload
	v_mfma_f64_16x16x4f64 v[18:25], v[178:179], v[134:135], v[18:25]
	v_mfma_f64_16x16x4f64 v[34:41], v[196:197], v[124:125], v[34:41]
	; sched_group_barrier mask(0x00000008) size(3) SyncID(0)
	; sched_group_barrier mask(0x00000020) size(1) SyncID(0)
	v_mfma_f64_16x16x4f64 v[18:25], v[180:181], v[136:137], v[18:25]
	buffer_load_dword v209, off, s[28:31], 0 offset:652 ; 4-byte Folded Reload
	v_mfma_f64_16x16x4f64 v[2:9], v[178:179], v[122:123], v[2:9]
	; sched_group_barrier mask(0x00000008) size(3) SyncID(0)
	; sched_group_barrier mask(0x00000020) size(1) SyncID(0)
	v_mfma_f64_16x16x4f64 v[18:25], v[174:175], v[130:131], v[18:25]
	v_mfma_f64_16x16x4f64 v[18:25], v[176:177], v[132:133], v[18:25]
	; sched_group_barrier mask(0x00000008) size(3) SyncID(0)
	s_waitcnt vmcnt(1)
	ds_write_b128 v199, v[210:213] offset:16
	buffer_load_dword v210, off, s[28:31], 0 offset:516 ; 4-byte Folded Reload
	v_mfma_f64_16x16x4f64 v[2:9], v[180:181], v[124:125], v[2:9]
	buffer_load_dword v122, off, s[28:31], 0 offset:256 ; 4-byte Folded Reload
	buffer_load_dword v123, off, s[28:31], 0 offset:260 ; 4-byte Folded Reload
	;; [unrolled: 1-line block ×4, first 2 shown]
	s_waitcnt vmcnt(2)
	v_mfma_f64_16x16x4f64 v[58:65], v[170:171], v[122:123], v[58:65]
	; sched_group_barrier mask(0x00000020) size(1) SyncID(0)
	v_xor_b32_e32 v205, v202, v209
	v_sub_u32_e32 v206, v205, v201
	v_lshlrev_b32_e32 v207, 5, v206
	v_add_u32_e32 v199, v199, v207
	v_add_u32_e32 v201, -1, v0
	v_ashrrev_i32_e32 v208, 31, v201
	v_lshrrev_b32_e32 v208, 28, v208
	v_add_u32_e32 v208, v201, v208
	v_and_b32_e32 v208, -16, v208
	v_sub_u32_e32 v231, v201, v208
	v_xor_b32_e32 v208, v231, v209
	v_sub_u32_e32 v205, v208, v205
	v_lshl_add_u32 v205, v205, 2, v162
	v_lshlrev_b32_e32 v209, 3, v205
	v_lshlrev_b32_e32 v206, 2, v206
	s_waitcnt vmcnt(0)
	v_mfma_f64_16x16x4f64 v[58:65], v[172:173], v[124:125], v[58:65]
	buffer_load_dword v211, off, s[28:31], 0 offset:520 ; 4-byte Folded Reload
	v_mfma_f64_16x16x4f64 v[18:25], v[154:155], v[122:123], v[18:25]
	; sched_group_barrier mask(0x00000008) size(3) SyncID(0)
	; sched_group_barrier mask(0x00000020) size(1) SyncID(0)
	v_mfma_f64_16x16x4f64 v[18:25], v[156:157], v[124:125], v[18:25]
	buffer_load_dword v212, off, s[28:31], 0 offset:524 ; 4-byte Folded Reload
	buffer_load_dword v213, off, s[28:31], 0 offset:528 ; 4-byte Folded Reload
	s_waitcnt vmcnt(0)
	ds_write_b128 v199, v[210:213]
	buffer_load_dword v210, off, s[28:31], 0 offset:548 ; 4-byte Folded Reload
	buffer_load_dword v211, off, s[28:31], 0 offset:552 ; 4-byte Folded Reload
	;; [unrolled: 1-line block ×4, first 2 shown]
	s_waitcnt vmcnt(0)
	ds_write_b128 v199, v[210:213] offset:16
	v_add_u32_e32 v210, v199, v209
	v_add_u32_e32 v199, 16, v199
	buffer_load_dword v213, off, s[28:31], 0 offset:656 ; 4-byte Folded Reload
	v_add_u32_e32 v199, v199, v209
	ds_write_b128 v199, v[94:97]
	buffer_load_dword v94, off, s[28:31], 0 offset:420 ; 4-byte Folded Reload
	buffer_load_dword v95, off, s[28:31], 0 offset:424 ; 4-byte Folded Reload
	;; [unrolled: 1-line block ×4, first 2 shown]
	ds_write_b128 v210, v[250:253]
	buffer_load_dword v250, off, s[28:31], 0 offset:452 ; 4-byte Folded Reload
	buffer_load_dword v251, off, s[28:31], 0 offset:456 ; 4-byte Folded Reload
	;; [unrolled: 1-line block ×4, first 2 shown]
	s_waitcnt vmcnt(8)
	v_xor_b32_e32 v211, v231, v213
	v_sub_u32_e32 v208, v211, v208
	v_lshlrev_b32_e32 v225, 5, v208
	v_add_u32_e32 v210, v210, v225
	v_add_u32_e32 v199, v199, v225
	v_xor_b32_e32 v213, v202, v213
	s_waitcnt vmcnt(4)
	ds_write_b128 v210, v[94:97]
	buffer_load_dword v94, off, s[28:31], 0 offset:436 ; 4-byte Folded Reload
	buffer_load_dword v95, off, s[28:31], 0 offset:440 ; 4-byte Folded Reload
	;; [unrolled: 1-line block ×4, first 2 shown]
	v_sub_u32_e32 v211, v213, v211
	v_lshl_add_u32 v224, v211, 2, 64
	v_lshlrev_b32_e32 v208, 2, v208
	s_waitcnt vmcnt(0)
	ds_write_b128 v199, v[94:97]
	v_pk_mov_b32 v[94:95], v[214:215], v[214:215] op_sel:[0,1]
	v_pk_mov_b32 v[96:97], v[216:217], v[216:217] op_sel:[0,1]
	buffer_load_dword v216, off, s[28:31], 0 offset:484 ; 4-byte Folded Reload
	buffer_load_dword v217, off, s[28:31], 0 offset:488 ; 4-byte Folded Reload
	;; [unrolled: 1-line block ×4, first 2 shown]
	v_lshlrev_b32_e32 v214, 5, v211
	v_add_u32_e32 v199, v199, v214
	v_lshlrev_b32_e32 v215, 3, v224
	s_waitcnt vmcnt(0)
	ds_write_b128 v199, v[216:219] offset:512
	buffer_load_dword v216, off, s[28:31], 0 offset:500 ; 4-byte Folded Reload
	buffer_load_dword v217, off, s[28:31], 0 offset:504 ; 4-byte Folded Reload
	;; [unrolled: 1-line block ×4, first 2 shown]
	v_add_u32_e32 v199, v210, v215
	s_waitcnt vmcnt(0)
	ds_write_b128 v199, v[216:219]
	buffer_load_dword v218, off, s[28:31], 0 offset:660 ; 4-byte Folded Reload
	s_waitcnt vmcnt(0)
	v_xor_b32_e32 v202, v202, v218
	v_sub_u32_e32 v210, v202, v213
	v_lshlrev_b32_e32 v219, 5, v210
	v_add_u32_e32 v216, v199, v219
	v_add3_u32 v199, v200, v203, v206
	v_lshlrev_b32_e32 v230, 2, v210
	v_add3_u32 v199, v199, v205, v208
	v_add3_u32 v163, v199, v224, v230
	buffer_load_dword v198, off, s[28:31], 0 offset:468 ; 4-byte Folded Reload
	buffer_load_dword v199, off, s[28:31], 0 offset:472 ; 4-byte Folded Reload
	;; [unrolled: 1-line block ×8, first 2 shown]
	v_lshlrev_b32_e32 v217, 3, v163
	buffer_store_dword v163, off, s[28:31], 0 offset:628 ; 4-byte Folded Spill
	v_xor_b32_e32 v163, v231, v218
	ds_write_b128 v216, v[250:253]
	buffer_store_dword v163, off, s[28:31], 0 offset:632 ; 4-byte Folded Spill
	s_waitcnt vmcnt(6)
	ds_write_b128 v217, v[198:201] offset:16
	v_sub_u32_e32 v199, v163, v202
	v_lshl_add_u32 v218, v199, 2, v162
	v_lshlrev_b32_e32 v202, 3, v218
	v_add3_u32 v217, v217, 16, v202
	s_waitcnt vmcnt(2)
	ds_write_b128 v217, v[210:213]
	buffer_load_dword v210, off, s[28:31], 0 offset:324 ; 4-byte Folded Reload
	buffer_load_dword v211, off, s[28:31], 0 offset:328 ; 4-byte Folded Reload
	;; [unrolled: 1-line block ×5, first 2 shown]
	v_add_u32_e32 v216, v216, v202
	s_waitcnt vmcnt(1)
	ds_write_b128 v216, v[210:213]
	s_waitcnt vmcnt(0)
	v_add_u32_e32 v216, v217, v232
	buffer_load_dwordx4 v[162:165], v216, s[0:3], 0 offen offset:1024
	v_pk_mov_b32 v[212:213], v[184:185], v[184:185] op_sel:[0,1]
	v_pk_mov_b32 v[210:211], v[182:183], v[182:183] op_sel:[0,1]
	buffer_load_dword v182, off, s[28:31], 0 offset:32 ; 4-byte Folded Reload
	buffer_load_dword v183, off, s[28:31], 0 offset:36 ; 4-byte Folded Reload
	;; [unrolled: 1-line block ×4, first 2 shown]
	s_waitcnt vmcnt(2)
	v_mfma_f64_16x16x4f64 v[42:49], v[66:67], v[182:183], v[42:49]
	buffer_store_dword v162, off, s[28:31], 0 offset:564 ; 4-byte Folded Spill
	s_nop 0
	buffer_store_dword v163, off, s[28:31], 0 offset:568 ; 4-byte Folded Spill
	buffer_store_dword v164, off, s[28:31], 0 offset:572 ; 4-byte Folded Spill
	;; [unrolled: 1-line block ×3, first 2 shown]
	buffer_load_dwordx4 v[162:165], v216, s[0:3], 0 offen offset:1040
	s_waitcnt vmcnt(0)
	buffer_store_dword v162, off, s[28:31], 0 offset:596 ; 4-byte Folded Spill
	s_nop 0
	buffer_store_dword v163, off, s[28:31], 0 offset:600 ; 4-byte Folded Spill
	buffer_store_dword v164, off, s[28:31], 0 offset:604 ; 4-byte Folded Spill
	;; [unrolled: 1-line block ×3, first 2 shown]
	buffer_load_dwordx4 v[198:201], v216, s[0:3], 0 offen offset:1072
	buffer_load_dwordx4 v[250:253], v216, s[0:3], 0 offen offset:1056
	v_pk_mov_b32 v[164:165], v[140:141], v[140:141] op_sel:[0,1]
	v_pk_mov_b32 v[162:163], v[138:139], v[138:139] op_sel:[0,1]
	;; [unrolled: 1-line block ×4, first 2 shown]
	buffer_load_dword v118, off, s[28:31], 0 ; 4-byte Folded Reload
	buffer_load_dword v119, off, s[28:31], 0 offset:4 ; 4-byte Folded Reload
	buffer_load_dword v120, off, s[28:31], 0 offset:8 ; 4-byte Folded Reload
	;; [unrolled: 1-line block ×3, first 2 shown]
	s_waitcnt vmcnt(2)
	v_mfma_f64_16x16x4f64 v[50:57], v[66:67], v[118:119], v[50:57]
	buffer_store_dword v198, off, s[28:31], 0 offset:612 ; 4-byte Folded Spill
	s_nop 0
	buffer_store_dword v199, off, s[28:31], 0 offset:616 ; 4-byte Folded Spill
	buffer_store_dword v200, off, s[28:31], 0 offset:620 ; 4-byte Folded Spill
	;; [unrolled: 1-line block ×3, first 2 shown]
	buffer_load_dwordx4 v[198:201], v216, s[0:3], 0 offen offset:1088
	s_waitcnt vmcnt(5)
	v_mfma_f64_16x16x4f64 v[50:57], v[68:69], v[120:121], v[50:57]
	v_mfma_f64_16x16x4f64 v[42:49], v[68:69], v[184:185], v[42:49]
	s_waitcnt vmcnt(0)
	buffer_store_dword v198, off, s[28:31], 0 offset:420 ; 4-byte Folded Spill
	s_nop 0
	buffer_store_dword v199, off, s[28:31], 0 offset:424 ; 4-byte Folded Spill
	buffer_store_dword v200, off, s[28:31], 0 offset:428 ; 4-byte Folded Spill
	buffer_store_dword v201, off, s[28:31], 0 offset:432 ; 4-byte Folded Spill
	buffer_load_dwordx4 v[74:77], v216, s[0:3], 0 offen offset:1104
	s_waitcnt vmcnt(0)
	buffer_store_dword v74, off, s[28:31], 0 offset:436 ; 4-byte Folded Spill
	s_nop 0
	buffer_store_dword v75, off, s[28:31], 0 offset:440 ; 4-byte Folded Spill
	buffer_store_dword v76, off, s[28:31], 0 offset:444 ; 4-byte Folded Spill
	buffer_store_dword v77, off, s[28:31], 0 offset:448 ; 4-byte Folded Spill
	buffer_load_dwordx4 v[66:69], v216, s[0:3], 0 offen offset:1136
	;; [unrolled: 7-line block ×3, first 2 shown]
	s_waitcnt vmcnt(0)
	buffer_store_dword v66, off, s[28:31], 0 offset:324 ; 4-byte Folded Spill
	s_nop 0
	buffer_store_dword v67, off, s[28:31], 0 offset:328 ; 4-byte Folded Spill
	buffer_store_dword v68, off, s[28:31], 0 offset:332 ; 4-byte Folded Spill
	;; [unrolled: 1-line block ×3, first 2 shown]
	v_add_u32_e32 v66, v217, v254
	buffer_load_dwordx4 v[74:77], v66, s[0:3], 0 offen offset:1120
	v_lshlrev_b32_e32 v67, 3, v233
	v_add_u32_e32 v68, v203, v233
	v_add3_u32 v68, v68, v206, v205
	v_lshlrev_b32_e32 v69, 3, v68
	v_add_u32_e32 v68, v68, v208
	s_waitcnt vmcnt(0)
	buffer_store_dword v74, off, s[28:31], 0 offset:452 ; 4-byte Folded Spill
	s_nop 0
	buffer_store_dword v75, off, s[28:31], 0 offset:456 ; 4-byte Folded Spill
	buffer_store_dword v76, off, s[28:31], 0 offset:460 ; 4-byte Folded Spill
	;; [unrolled: 1-line block ×3, first 2 shown]
	buffer_load_dwordx4 v[74:77], v66, s[0:3], 0 offen offset:1136
	s_waitcnt vmcnt(0)
	buffer_store_dword v74, off, s[28:31], 0 offset:468 ; 4-byte Folded Spill
	s_nop 0
	buffer_store_dword v75, off, s[28:31], 0 offset:472 ; 4-byte Folded Spill
	buffer_store_dword v76, off, s[28:31], 0 offset:476 ; 4-byte Folded Spill
	;; [unrolled: 1-line block ×3, first 2 shown]
	buffer_load_dwordx4 v[74:77], v66, s[0:3], 0 offen offset:1104
	s_waitcnt vmcnt(0)
	buffer_store_dword v74, off, s[28:31], 0 offset:484 ; 4-byte Folded Spill
	s_nop 0
	buffer_store_dword v75, off, s[28:31], 0 offset:488 ; 4-byte Folded Spill
	buffer_store_dword v76, off, s[28:31], 0 offset:492 ; 4-byte Folded Spill
	;; [unrolled: 1-line block ×3, first 2 shown]
	buffer_load_dword v74, off, s[28:31], 0 offset:308 ; 4-byte Folded Reload
	s_nop 0
	buffer_load_dword v75, off, s[28:31], 0 offset:312 ; 4-byte Folded Reload
	buffer_load_dword v76, off, s[28:31], 0 offset:316 ; 4-byte Folded Reload
	;; [unrolled: 1-line block ×3, first 2 shown]
	s_waitcnt vmcnt(0)
	ds_write_b128 v67, v[74:77] offset:32768
	buffer_load_dword v74, off, s[28:31], 0 offset:356 ; 4-byte Folded Reload
	buffer_load_dword v75, off, s[28:31], 0 offset:360 ; 4-byte Folded Reload
	;; [unrolled: 1-line block ×4, first 2 shown]
	s_waitcnt vmcnt(0)
	ds_write_b128 v67, v[74:77] offset:32784
	buffer_load_dword v74, off, s[28:31], 0 offset:372 ; 4-byte Folded Reload
	buffer_load_dword v75, off, s[28:31], 0 offset:376 ; 4-byte Folded Reload
	;; [unrolled: 1-line block ×4, first 2 shown]
	v_add_u32_e32 v67, v204, v67
	ds_write_b128 v67, v[102:105] offset:32784
	ds_write_b128 v67, v[238:241] offset:32768
	v_add_u32_e32 v67, v67, v207
	ds_write_b128 v67, v[98:101] offset:32768
	ds_write_b128 v67, v[106:109] offset:32784
	v_add3_u32 v67, v67, s18, v209
	buffer_load_dword v102, off, s[28:31], 0 offset:96 ; 4-byte Folded Reload
	buffer_load_dword v103, off, s[28:31], 0 offset:100 ; 4-byte Folded Reload
	;; [unrolled: 1-line block ×4, first 2 shown]
	s_waitcnt vmcnt(2)
	v_mfma_f64_16x16x4f64 v[2:9], v[174:175], v[102:103], v[2:9]
	buffer_load_dword v106, off, s[28:31], 0 offset:112 ; 4-byte Folded Reload
	buffer_load_dword v107, off, s[28:31], 0 offset:116 ; 4-byte Folded Reload
	;; [unrolled: 1-line block ×4, first 2 shown]
	ds_write_b128 v67, v[74:77]
	buffer_load_dword v74, off, s[28:31], 0 offset:340 ; 4-byte Folded Reload
	buffer_load_dword v75, off, s[28:31], 0 offset:344 ; 4-byte Folded Reload
	buffer_load_dword v76, off, s[28:31], 0 offset:348 ; 4-byte Folded Reload
	buffer_load_dword v77, off, s[28:31], 0 offset:352 ; 4-byte Folded Reload
	v_add_u32_e32 v67, v67, v225
	s_waitcnt vmcnt(8)
	v_mfma_f64_16x16x4f64 v[2:9], v[176:177], v[104:105], v[2:9]
	v_mfma_f64_16x16x4f64 v[26:33], v[220:221], v[182:183], v[26:33]
	;; [unrolled: 1-line block ×9, first 2 shown]
	buffer_load_dword v118, off, s[28:31], 0 offset:128 ; 4-byte Folded Reload
	buffer_load_dword v119, off, s[28:31], 0 offset:132 ; 4-byte Folded Reload
	;; [unrolled: 1-line block ×4, first 2 shown]
	s_waitcnt vmcnt(2)
	v_mfma_f64_16x16x4f64 v[26:33], v[174:175], v[118:119], v[26:33]
	ds_write_b128 v69, v[74:77] offset:32768
	buffer_load_dword v74, off, s[28:31], 0 offset:388 ; 4-byte Folded Reload
	buffer_load_dword v75, off, s[28:31], 0 offset:392 ; 4-byte Folded Reload
	;; [unrolled: 1-line block ×4, first 2 shown]
	v_add3_u32 v69, v69, s22, v225
	s_waitcnt vmcnt(4)
	v_mfma_f64_16x16x4f64 v[26:33], v[176:177], v[120:121], v[26:33]
	v_mfma_f64_16x16x4f64 v[42:49], v[194:195], v[126:127], v[42:49]
	;; [unrolled: 1-line block ×4, first 2 shown]
	s_waitcnt vmcnt(0)
	ds_write_b128 v69, v[74:77]
	buffer_load_dwordx4 v[74:77], v66, s[0:3], 0 offen offset:1088
	v_mfma_f64_16x16x4f64 v[42:49], v[192:193], v[120:121], v[42:49]
	buffer_load_dword v118, off, s[28:31], 0 offset:160 ; 4-byte Folded Reload
	buffer_load_dword v119, off, s[28:31], 0 offset:164 ; 4-byte Folded Reload
	buffer_load_dword v120, off, s[28:31], 0 offset:168 ; 4-byte Folded Reload
	buffer_load_dword v121, off, s[28:31], 0 offset:172 ; 4-byte Folded Reload
	s_waitcnt vmcnt(2)
	v_mfma_f64_16x16x4f64 v[2:9], v[154:155], v[118:119], v[2:9]
	buffer_store_dword v74, off, s[28:31], 0 offset:500 ; 4-byte Folded Spill
	s_nop 0
	buffer_store_dword v75, off, s[28:31], 0 offset:504 ; 4-byte Folded Spill
	buffer_store_dword v76, off, s[28:31], 0 offset:508 ; 4-byte Folded Spill
	;; [unrolled: 1-line block ×3, first 2 shown]
	buffer_load_dwordx4 v[74:77], v66, s[0:3], 0 offen offset:1040
	s_waitcnt vmcnt(5)
	v_mfma_f64_16x16x4f64 v[2:9], v[156:157], v[120:121], v[2:9]
	buffer_load_dwordx4 v[98:101], v66, s[0:3], 0 offen offset:1024
	s_waitcnt vmcnt(1)
	buffer_store_dword v74, off, s[28:31], 0 offset:532 ; 4-byte Folded Spill
	s_nop 0
	buffer_store_dword v75, off, s[28:31], 0 offset:536 ; 4-byte Folded Spill
	buffer_store_dword v76, off, s[28:31], 0 offset:540 ; 4-byte Folded Spill
	;; [unrolled: 1-line block ×3, first 2 shown]
	buffer_load_dwordx4 v[74:77], v66, s[0:3], 0 offen offset:1056
	s_waitcnt vmcnt(0)
	buffer_store_dword v74, off, s[28:31], 0 offset:516 ; 4-byte Folded Spill
	s_nop 0
	buffer_store_dword v75, off, s[28:31], 0 offset:520 ; 4-byte Folded Spill
	buffer_store_dword v76, off, s[28:31], 0 offset:524 ; 4-byte Folded Spill
	;; [unrolled: 1-line block ×3, first 2 shown]
	buffer_load_dwordx4 v[74:77], v66, s[0:3], 0 offen offset:1072
	v_add_u32_e32 v66, v217, v1
	s_waitcnt vmcnt(0)
	buffer_store_dword v74, off, s[28:31], 0 offset:548 ; 4-byte Folded Spill
	s_nop 0
	buffer_store_dword v75, off, s[28:31], 0 offset:552 ; 4-byte Folded Spill
	buffer_store_dword v76, off, s[28:31], 0 offset:556 ; 4-byte Folded Spill
	buffer_store_dword v77, off, s[28:31], 0 offset:560 ; 4-byte Folded Spill
	buffer_load_dwordx4 v[74:77], v66, s[4:7], 0 offen offset:1024
	s_waitcnt vmcnt(0)
	buffer_store_dword v74, off, s[28:31], 0 offset:308 ; 4-byte Folded Spill
	s_nop 0
	buffer_store_dword v75, off, s[28:31], 0 offset:312 ; 4-byte Folded Spill
	buffer_store_dword v76, off, s[28:31], 0 offset:316 ; 4-byte Folded Spill
	buffer_store_dword v77, off, s[28:31], 0 offset:320 ; 4-byte Folded Spill
	buffer_load_dwordx4 v[74:77], v66, s[4:7], 0 offen offset:1040
	;; [unrolled: 7-line block ×5, first 2 shown]
	s_waitcnt vmcnt(0)
	buffer_store_dword v74, off, s[28:31], 0 offset:388 ; 4-byte Folded Spill
	s_nop 0
	buffer_store_dword v75, off, s[28:31], 0 offset:392 ; 4-byte Folded Spill
	buffer_store_dword v76, off, s[28:31], 0 offset:396 ; 4-byte Folded Spill
	;; [unrolled: 1-line block ×3, first 2 shown]
	buffer_load_dword v74, off, s[28:31], 0 offset:580 ; 4-byte Folded Reload
	s_nop 0
	buffer_load_dword v75, off, s[28:31], 0 offset:584 ; 4-byte Folded Reload
	buffer_load_dword v76, off, s[28:31], 0 offset:588 ; 4-byte Folded Reload
	;; [unrolled: 1-line block ×3, first 2 shown]
	s_waitcnt vmcnt(0)
	ds_write_b128 v67, v[74:77]
	v_add_u32_e32 v67, v67, v214
	ds_write_b128 v67, v[78:81] offset:512
	v_add_u32_e32 v67, v69, v215
	ds_write_b128 v67, v[90:93]
	v_add_u32_e32 v67, v67, v219
	ds_write_b128 v67, v[94:97]
	v_add3_u32 v94, v68, v224, v230
	v_lshlrev_b32_e32 v68, 3, v94
	ds_write_b128 v68, v[70:73] offset:32784
	v_add3_u32 v68, v68, s18, v202
	ds_write_b128 v68, v[114:117]
	buffer_load_dword v68, off, s[28:31], 0 offset:636 ; 4-byte Folded Reload
	buffer_load_dword v69, off, s[28:31], 0 offset:640 ; 4-byte Folded Reload
	buffer_load_dword v70, off, s[28:31], 0 offset:644 ; 4-byte Folded Reload
	buffer_load_dword v71, off, s[28:31], 0 offset:648 ; 4-byte Folded Reload
	v_pk_mov_b32 v[116:117], v[100:101], v[100:101] op_sel:[0,1]
	v_pk_mov_b32 v[114:115], v[98:99], v[98:99] op_sel:[0,1]
	buffer_load_dword v96, off, s[28:31], 0 offset:192 ; 4-byte Folded Reload
	buffer_load_dword v97, off, s[28:31], 0 offset:196 ; 4-byte Folded Reload
	;; [unrolled: 1-line block ×4, first 2 shown]
	v_add_u32_e32 v67, v67, v202
	buffer_load_dwordx4 v[74:77], v66, s[4:7], 0 offen offset:1104
	s_waitcnt vmcnt(5)
	ds_write_b128 v67, v[68:71]
	buffer_load_dword v68, off, s[28:31], 0 offset:48 ; 4-byte Folded Reload
	buffer_load_dword v69, off, s[28:31], 0 offset:52 ; 4-byte Folded Reload
	;; [unrolled: 1-line block ×4, first 2 shown]
	s_waitcnt vmcnt(2)
	v_mfma_f64_16x16x4f64 v[2:9], v[150:151], v[68:69], v[2:9]
	v_mfma_f64_16x16x4f64 v[26:33], v[154:155], v[96:97], v[26:33]
	buffer_store_dword v74, off, s[28:31], 0 offset:580 ; 4-byte Folded Spill
	s_nop 0
	buffer_store_dword v75, off, s[28:31], 0 offset:584 ; 4-byte Folded Spill
	buffer_store_dword v76, off, s[28:31], 0 offset:588 ; 4-byte Folded Spill
	;; [unrolled: 1-line block ×3, first 2 shown]
	buffer_load_dwordx4 v[206:209], v66, s[4:7], 0 offen offset:1136
	v_mfma_f64_16x16x4f64 v[26:33], v[156:157], v[98:99], v[26:33]
	v_mfma_f64_16x16x4f64 v[10:17], v[178:179], v[106:107], v[10:17]
	buffer_load_dword v72, off, s[28:31], 0 offset:64 ; 4-byte Folded Reload
	buffer_load_dword v73, off, s[28:31], 0 offset:68 ; 4-byte Folded Reload
	;; [unrolled: 1-line block ×4, first 2 shown]
	v_mfma_f64_16x16x4f64 v[10:17], v[180:181], v[108:109], v[10:17]
	v_mfma_f64_16x16x4f64 v[50:57], v[194:195], v[106:107], v[50:57]
	;; [unrolled: 1-line block ×3, first 2 shown]
	buffer_load_dword v106, off, s[28:31], 0 offset:80 ; 4-byte Folded Reload
	buffer_load_dword v107, off, s[28:31], 0 offset:84 ; 4-byte Folded Reload
	;; [unrolled: 1-line block ×4, first 2 shown]
	s_waitcnt vmcnt(2)
	v_mfma_f64_16x16x4f64 v[26:33], v[150:151], v[106:107], v[26:33]
	s_waitcnt vmcnt(0)
	v_mfma_f64_16x16x4f64 v[26:33], v[152:153], v[108:109], v[26:33]
	v_mfma_f64_16x16x4f64 v[34:41], v[190:191], v[102:103], v[34:41]
	buffer_load_dword v100, off, s[28:31], 0 offset:240 ; 4-byte Folded Reload
	buffer_load_dword v101, off, s[28:31], 0 offset:244 ; 4-byte Folded Reload
	;; [unrolled: 1-line block ×4, first 2 shown]
	s_waitcnt vmcnt(2)
	v_mfma_f64_16x16x4f64 v[18:25], v[150:151], v[100:101], v[18:25]
	s_waitcnt vmcnt(0)
	v_mfma_f64_16x16x4f64 v[18:25], v[152:153], v[102:103], v[18:25]
	v_mfma_f64_16x16x4f64 v[34:41], v[192:193], v[104:105], v[34:41]
	;; [unrolled: 1-line block ×21, first 2 shown]
	buffer_load_dwordx4 v[234:237], v66, s[4:7], 0 offen offset:1120
	v_add_u32_e32 v66, v217, v255
	buffer_load_dwordx4 v[214:217], v66, s[4:7], 0 offen offset:1120
	buffer_load_dwordx4 v[90:93], v66, s[4:7], 0 offen offset:1136
	;; [unrolled: 1-line block ×8, first 2 shown]
	v_mfma_f64_16x16x4f64 v[58:65], v[82:83], v[146:147], v[58:65]
	buffer_load_dword v66, off, s[28:31], 0 offset:224 ; 4-byte Folded Reload
	buffer_load_dword v67, off, s[28:31], 0 offset:228 ; 4-byte Folded Reload
	;; [unrolled: 1-line block ×4, first 2 shown]
	s_waitcnt vmcnt(2)
	v_mfma_f64_16x16x4f64 v[26:33], v[86:87], v[66:67], v[26:33]
	v_mfma_f64_16x16x4f64 v[58:65], v[84:85], v[148:149], v[58:65]
	s_waitcnt vmcnt(0)
	v_mfma_f64_16x16x4f64 v[26:33], v[88:89], v[68:69], v[26:33]
	v_mfma_f64_16x16x4f64 v[42:49], v[110:111], v[66:67], v[42:49]
	;; [unrolled: 1-line block ×3, first 2 shown]
	buffer_load_dword v66, off, s[28:31], 0 offset:144 ; 4-byte Folded Reload
	buffer_load_dword v67, off, s[28:31], 0 offset:148 ; 4-byte Folded Reload
	;; [unrolled: 1-line block ×4, first 2 shown]
	v_mfma_f64_16x16x4f64 v[34:41], v[168:169], v[70:71], v[34:41]
	s_waitcnt lgkmcnt(0)
	s_barrier
	s_waitcnt vmcnt(2)
	v_mfma_f64_16x16x4f64 v[34:41], v[110:111], v[66:67], v[34:41]
	s_waitcnt vmcnt(0)
	v_mfma_f64_16x16x4f64 v[34:41], v[112:113], v[68:69], v[34:41]
	v_mfma_f64_16x16x4f64 v[2:9], v[152:153], v[70:71], v[2:9]
	buffer_load_dword v70, off, s[28:31], 0 offset:668 ; 4-byte Folded Reload
	v_mfma_f64_16x16x4f64 v[10:17], v[154:155], v[72:73], v[10:17]
	; sched_group_barrier mask(0x00000008) size(3) SyncID(0)
	; sched_group_barrier mask(0x00000020) size(1) SyncID(0)
	;; [unrolled: 1-line block ×8, first 2 shown]
	v_mfma_f64_16x16x4f64 v[34:41], v[82:83], v[158:159], v[34:41]
	v_mfma_f64_16x16x4f64 v[2:9], v[86:87], v[66:67], v[2:9]
	buffer_load_dword v66, off, s[28:31], 0 offset:664 ; 4-byte Folded Reload
	v_mfma_f64_16x16x4f64 v[10:17], v[156:157], v[74:75], v[10:17]
	v_mfma_f64_16x16x4f64 v[34:41], v[84:85], v[160:161], v[34:41]
	;; [unrolled: 1-line block ×7, first 2 shown]
	; sched_group_barrier mask(0x00000008) size(3) SyncID(0)
	; sched_group_barrier mask(0x00000020) size(1) SyncID(0)
	;; [unrolled: 1-line block ×12, first 2 shown]
	v_mfma_f64_16x16x4f64 v[2:9], v[228:229], v[160:161], v[2:9]
	v_mfma_f64_16x16x4f64 v[10:17], v[86:87], v[142:143], v[10:17]
	;; [unrolled: 1-line block ×3, first 2 shown]
	buffer_load_dword v86, off, s[28:31], 0 offset:716 ; 4-byte Folded Reload
	buffer_load_dword v87, off, s[28:31], 0 offset:756 ; 4-byte Folded Reload
	v_mfma_f64_16x16x4f64 v[10:17], v[88:89], v[144:145], v[10:17]
	v_mfma_f64_16x16x4f64 v[50:57], v[166:167], v[242:243], v[50:57]
	;; [unrolled: 1-line block ×4, first 2 shown]
	; sched_group_barrier mask(0x00000008) size(3) SyncID(0)
	; sched_group_barrier mask(0x00000020) size(1) SyncID(0)
	;; [unrolled: 1-line block ×19, first 2 shown]
	v_mfma_f64_16x16x4f64 v[10:17], v[228:229], v[164:165], v[10:17]
	v_mfma_f64_16x16x4f64 v[50:57], v[110:111], v[142:143], v[50:57]
	;; [unrolled: 1-line block ×4, first 2 shown]
	s_waitcnt vmcnt(3)
	ds_read_b128 v[246:249], v70 offset:16384
	ds_read_b128 v[220:223], v70 offset:16400
	buffer_load_dword v70, off, s[28:31], 0 offset:672 ; 4-byte Folded Reload
	v_mfma_f64_16x16x4f64 v[50:57], v[84:85], v[164:165], v[50:57]
	s_waitcnt vmcnt(0)
	v_add_u32_e32 v70, v86, v70
	ds_read_b128 v[118:121], v70 offset:40960
	ds_read_b128 v[70:73], v70 offset:40976
	s_waitcnt lgkmcnt(0)
	buffer_store_dword v70, off, s[28:31], 0 ; 4-byte Folded Spill
	s_nop 0
	buffer_store_dword v73, off, s[28:31], 0 offset:12 ; 4-byte Folded Spill
	buffer_load_dword v70, off, s[28:31], 0 offset:676 ; 4-byte Folded Reload
	s_waitcnt vmcnt(0)
	v_add_u32_e32 v70, v86, v70
	buffer_store_dword v71, off, s[28:31], 0 offset:4 ; 4-byte Folded Spill
	buffer_store_dword v72, off, s[28:31], 0 offset:8 ; 4-byte Folded Spill
	ds_read_b128 v[130:133], v70 offset:49152
	ds_read_b128 v[70:73], v70 offset:49168
	s_waitcnt lgkmcnt(0)
	buffer_store_dword v70, off, s[28:31], 0 offset:32 ; 4-byte Folded Spill
	s_nop 0
	buffer_store_dword v73, off, s[28:31], 0 offset:44 ; 4-byte Folded Spill
	buffer_load_dword v70, off, s[28:31], 0 offset:680 ; 4-byte Folded Reload
	s_waitcnt vmcnt(0)
	v_add_u32_e32 v70, v86, v70
	buffer_store_dword v71, off, s[28:31], 0 offset:36 ; 4-byte Folded Spill
	buffer_store_dword v72, off, s[28:31], 0 offset:40 ; 4-byte Folded Spill
	ds_read_b128 v[134:137], v70 offset:57344
	ds_read_b128 v[126:129], v70 offset:57360
	buffer_load_dword v70, off, s[28:31], 0 offset:16 ; 4-byte Folded Reload
	buffer_load_dword v71, off, s[28:31], 0 offset:20 ; 4-byte Folded Reload
	;; [unrolled: 1-line block ×4, first 2 shown]
	s_waitcnt vmcnt(2)
	v_mfma_f64_16x16x4f64 v[42:49], v[82:83], v[70:71], v[42:49]
	v_mfma_f64_16x16x4f64 v[26:33], v[226:227], v[70:71], v[26:33]
	buffer_load_dword v70, off, s[28:31], 0 offset:304 ; 4-byte Folded Reload
	buffer_load_dword v71, off, s[28:31], 0 offset:628 ; 4-byte Folded Reload
	;; [unrolled: 1-line block ×4, first 2 shown]
	ds_read_b128 v[186:189], v86 offset:32768
	ds_read_b128 v[122:125], v86 offset:32784
	ds_read_b128 v[74:77], v66
	ds_read_b128 v[66:69], v66 offset:16
	; sched_group_barrier mask(0x00000100) size(2) SyncID(0)
	; sched_group_barrier mask(0x00000008) size(1) SyncID(0)
	;; [unrolled: 1-line block ×12, first 2 shown]
	s_waitcnt vmcnt(4)
	v_mfma_f64_16x16x4f64 v[42:49], v[84:85], v[72:73], v[42:49]
	v_mfma_f64_16x16x4f64 v[26:33], v[228:229], v[72:73], v[26:33]
	buffer_load_dword v72, off, s[28:31], 0 offset:704 ; 4-byte Folded Reload
	s_waitcnt vmcnt(4)
	v_xor_b32_e32 v219, v231, v70
	buffer_load_dword v70, off, s[28:31], 0 offset:632 ; 4-byte Folded Reload
	buffer_load_dword v73, off, s[28:31], 0 offset:724 ; 4-byte Folded Reload
	s_waitcnt vmcnt(4)
	v_add_u32_e32 v82, v86, v82
	buffer_load_dword v85, off, s[28:31], 0 offset:752 ; 4-byte Folded Reload
	buffer_load_dword v84, off, s[28:31], 0 offset:748 ; 4-byte Folded Reload
	s_waitcnt vmcnt(5)
	v_add_u32_e32 v83, v86, v83
	s_waitcnt vmcnt(4)
	v_add_u32_e32 v72, v86, v72
	s_waitcnt vmcnt(3)
	v_sub_u32_e32 v70, v219, v70
	v_lshlrev_b32_e32 v70, 2, v70
	v_add3_u32 v200, v71, v218, v70
	v_add3_u32 v233, v94, v218, v70
	buffer_load_dword v70, off, s[28:31], 0 offset:696 ; 4-byte Folded Reload
	buffer_load_dword v71, off, s[28:31], 0 offset:700 ; 4-byte Folded Reload
	s_waitcnt vmcnt(4)
	v_add_u32_e32 v73, v86, v73
	s_waitcnt vmcnt(3)
	v_add_u32_e32 v85, v86, v85
	;; [unrolled: 2-line block ×3, first 2 shown]
	ds_read_b128 v[142:145], v84 offset:40960
	ds_read_b128 v[138:141], v84 offset:40976
	buffer_load_dword v94, off, s[28:31], 0 offset:612 ; 4-byte Folded Reload
	ds_read_b128 v[242:245], v73 offset:40976
	buffer_load_dword v95, off, s[28:31], 0 offset:616 ; 4-byte Folded Reload
	buffer_load_dword v96, off, s[28:31], 0 offset:620 ; 4-byte Folded Reload
	;; [unrolled: 1-line block ×3, first 2 shown]
	s_waitcnt vmcnt(5)
	v_add_u32_e32 v70, v86, v70
	ds_read_b128 v[110:113], v70 offset:40960
	s_waitcnt vmcnt(4)
	v_add_u32_e32 v71, v86, v71
	v_add_u32_e32 v86, v86, v87
	ds_read_b128 v[158:161], v86 offset:57360
	ds_read_b128 v[210:213], v70 offset:40976
	s_waitcnt lgkmcnt(2)
	buffer_store_dword v110, off, s[28:31], 0 offset:112 ; 4-byte Folded Spill
	s_nop 0
	buffer_store_dword v111, off, s[28:31], 0 offset:116 ; 4-byte Folded Spill
	buffer_store_dword v112, off, s[28:31], 0 offset:120 ; 4-byte Folded Spill
	buffer_store_dword v113, off, s[28:31], 0 offset:124 ; 4-byte Folded Spill
	ds_read_b128 v[110:113], v71 offset:49152
	s_waitcnt lgkmcnt(0)
	buffer_store_dword v110, off, s[28:31], 0 offset:208 ; 4-byte Folded Spill
	s_nop 0
	buffer_store_dword v111, off, s[28:31], 0 offset:212 ; 4-byte Folded Spill
	buffer_store_dword v112, off, s[28:31], 0 offset:216 ; 4-byte Folded Spill
	buffer_store_dword v113, off, s[28:31], 0 offset:220 ; 4-byte Folded Spill
	;; [unrolled: 7-line block ×5, first 2 shown]
	ds_read_b128 v[110:113], v73 offset:40960
	buffer_load_dword v70, off, s[28:31], 0 offset:596 ; 4-byte Folded Reload
	buffer_load_dword v71, off, s[28:31], 0 offset:600 ; 4-byte Folded Reload
	;; [unrolled: 1-line block ×4, first 2 shown]
	s_waitcnt lgkmcnt(0)
	buffer_store_dword v110, off, s[28:31], 0 offset:64 ; 4-byte Folded Spill
	s_nop 0
	buffer_store_dword v111, off, s[28:31], 0 offset:68 ; 4-byte Folded Spill
	buffer_store_dword v112, off, s[28:31], 0 offset:72 ; 4-byte Folded Spill
	;; [unrolled: 1-line block ×3, first 2 shown]
	ds_read_b128 v[110:113], v82 offset:49152
	s_waitcnt lgkmcnt(0)
	buffer_store_dword v110, off, s[28:31], 0 offset:192 ; 4-byte Folded Spill
	s_nop 0
	buffer_store_dword v111, off, s[28:31], 0 offset:196 ; 4-byte Folded Spill
	buffer_store_dword v112, off, s[28:31], 0 offset:200 ; 4-byte Folded Spill
	;; [unrolled: 1-line block ×3, first 2 shown]
	ds_read_b128 v[110:113], v82 offset:49168
	buffer_load_dword v82, off, s[28:31], 0 offset:684 ; 4-byte Folded Reload
	s_waitcnt vmcnt(0)
	ds_read_b128 v[194:197], v82
	ds_read_b128 v[190:193], v82 offset:16
	buffer_load_dword v82, off, s[28:31], 0 offset:688 ; 4-byte Folded Reload
	s_waitcnt vmcnt(0)
	ds_read_b128 v[178:181], v82 offset:16384
	ds_read_b128 v[174:177], v82 offset:16400
	buffer_load_dword v82, off, s[28:31], 0 offset:692 ; 4-byte Folded Reload
	s_waitcnt lgkmcnt(4)
	buffer_store_dword v110, off, s[28:31], 0 offset:80 ; 4-byte Folded Spill
	s_nop 0
	buffer_store_dword v111, off, s[28:31], 0 offset:84 ; 4-byte Folded Spill
	buffer_store_dword v112, off, s[28:31], 0 offset:88 ; 4-byte Folded Spill
	buffer_store_dword v113, off, s[28:31], 0 offset:92 ; 4-byte Folded Spill
	ds_read_b128 v[110:113], v83 offset:57344
	s_waitcnt lgkmcnt(0)
	buffer_store_dword v110, off, s[28:31], 0 offset:160 ; 4-byte Folded Spill
	s_nop 0
	buffer_store_dword v111, off, s[28:31], 0 offset:164 ; 4-byte Folded Spill
	buffer_store_dword v112, off, s[28:31], 0 offset:168 ; 4-byte Folded Spill
	buffer_store_dword v113, off, s[28:31], 0 offset:172 ; 4-byte Folded Spill
	ds_read_b128 v[110:113], v83 offset:57360
	s_waitcnt lgkmcnt(0)
	buffer_store_dword v110, off, s[28:31], 0 offset:48 ; 4-byte Folded Spill
	s_nop 0
	buffer_store_dword v111, off, s[28:31], 0 offset:52 ; 4-byte Folded Spill
	buffer_store_dword v112, off, s[28:31], 0 offset:56 ; 4-byte Folded Spill
	buffer_store_dword v113, off, s[28:31], 0 offset:60 ; 4-byte Folded Spill
	ds_read_b128 v[110:113], v85 offset:49152
	s_waitcnt lgkmcnt(0)
	buffer_store_dword v110, off, s[28:31], 0 offset:224 ; 4-byte Folded Spill
	s_nop 0
	buffer_store_dword v111, off, s[28:31], 0 offset:228 ; 4-byte Folded Spill
	buffer_store_dword v112, off, s[28:31], 0 offset:232 ; 4-byte Folded Spill
	buffer_store_dword v113, off, s[28:31], 0 offset:236 ; 4-byte Folded Spill
	ds_read_b128 v[110:113], v85 offset:49168
	s_waitcnt lgkmcnt(0)
	buffer_store_dword v110, off, s[28:31], 0 offset:16 ; 4-byte Folded Spill
	s_nop 0
	buffer_store_dword v111, off, s[28:31], 0 offset:20 ; 4-byte Folded Spill
	buffer_store_dword v112, off, s[28:31], 0 offset:24 ; 4-byte Folded Spill
	buffer_store_dword v113, off, s[28:31], 0 offset:28 ; 4-byte Folded Spill
	ds_read_b128 v[110:113], v86 offset:57344
	s_waitcnt lgkmcnt(0)
	buffer_store_dword v110, off, s[28:31], 0 offset:144 ; 4-byte Folded Spill
	s_nop 0
	buffer_store_dword v111, off, s[28:31], 0 offset:148 ; 4-byte Folded Spill
	buffer_store_dword v112, off, s[28:31], 0 offset:152 ; 4-byte Folded Spill
	;; [unrolled: 1-line block ×3, first 2 shown]
	s_waitcnt vmcnt(24)
	ds_read_b128 v[84:87], v82 offset:32768
	s_waitcnt lgkmcnt(0)
	buffer_store_dword v84, off, s[28:31], 0 offset:288 ; 4-byte Folded Spill
	s_nop 0
	buffer_store_dword v85, off, s[28:31], 0 offset:292 ; 4-byte Folded Spill
	buffer_store_dword v87, off, s[28:31], 0 offset:300 ; 4-byte Folded Spill
	ds_read_b128 v[82:85], v82 offset:32784
	buffer_store_dword v86, off, s[28:31], 0 offset:296 ; 4-byte Folded Spill
	s_waitcnt lgkmcnt(0)
	buffer_store_dword v82, off, s[28:31], 0 offset:272 ; 4-byte Folded Spill
	s_nop 0
	buffer_store_dword v85, off, s[28:31], 0 offset:284 ; 4-byte Folded Spill
	buffer_load_dword v82, off, s[28:31], 0 offset:708 ; 4-byte Folded Reload
	s_waitcnt vmcnt(0)
	ds_read_b128 v[170:173], v82
	ds_read_b128 v[166:169], v82 offset:16
	buffer_load_dword v82, off, s[28:31], 0 offset:712 ; 4-byte Folded Reload
	s_waitcnt vmcnt(0)
	ds_read_b128 v[154:157], v82 offset:16384
	buffer_store_dword v83, off, s[28:31], 0 offset:276 ; 4-byte Folded Spill
	buffer_load_dword v83, off, s[28:31], 0 offset:720 ; 4-byte Folded Reload
	ds_read_b128 v[150:153], v82 offset:16400
	buffer_load_dword v82, off, s[28:31], 0 offset:744 ; 4-byte Folded Reload
	s_waitcnt vmcnt(0)
	ds_read_b128 v[182:185], v82 offset:32768
	buffer_store_dword v84, off, s[28:31], 0 offset:280 ; 4-byte Folded Spill
	ds_read_b128 v[84:87], v83 offset:32768
	ds_read_b128 v[146:149], v82 offset:32784
	buffer_load_dword v82, off, s[28:31], 0 offset:736 ; 4-byte Folded Reload
	s_waitcnt vmcnt(0)
	ds_read_b128 v[110:113], v82
	s_waitcnt lgkmcnt(2)
	buffer_store_dword v84, off, s[28:31], 0 offset:256 ; 4-byte Folded Spill
	s_nop 0
	buffer_store_dword v85, off, s[28:31], 0 offset:260 ; 4-byte Folded Spill
	buffer_store_dword v86, off, s[28:31], 0 offset:264 ; 4-byte Folded Spill
	;; [unrolled: 1-line block ×3, first 2 shown]
	ds_read_b128 v[84:87], v83 offset:32784
	buffer_load_dword v83, off, s[28:31], 0 offset:740 ; 4-byte Folded Reload
	s_waitcnt vmcnt(0)
	ds_read_b128 v[226:229], v83 offset:16400
	s_waitcnt lgkmcnt(1)
	buffer_store_dword v84, off, s[28:31], 0 offset:240 ; 4-byte Folded Spill
	s_nop 0
	buffer_store_dword v85, off, s[28:31], 0 offset:244 ; 4-byte Folded Spill
	buffer_store_dword v86, off, s[28:31], 0 offset:248 ; 4-byte Folded Spill
	;; [unrolled: 1-line block ×3, first 2 shown]
	ds_read_b128 v[86:89], v83 offset:16384
	ds_read_b128 v[82:85], v82 offset:16
	; sched_barrier mask(0x00000000)
	buffer_load_dword v162, off, s[28:31], 0 offset:768 ; 4-byte Folded Reload
	s_add_i32 s23, s23, -1
	v_add_u32_e32 v255, 0x200, v255
	v_add_u32_e32 v1, 0x200, v1
	;; [unrolled: 1-line block ×3, first 2 shown]
	s_cmp_lg_u32 s23, 0
	v_add_u32_e32 v232, 0x200, v232
	s_waitcnt vmcnt(0)
	v_add_u32_e32 v0, v0, v162
	s_cbranch_scc1 .LBB2_11
; %bb.12:
	v_mfma_f64_16x16x4f64 v[58:65], v[74:75], v[186:187], v[58:65]
	buffer_load_dword v70, off, s[28:31], 0 ; 4-byte Folded Reload
	buffer_load_dword v71, off, s[28:31], 0 offset:4 ; 4-byte Folded Reload
	buffer_load_dword v72, off, s[28:31], 0 offset:8 ; 4-byte Folded Reload
	;; [unrolled: 1-line block ×3, first 2 shown]
	s_lshl_b64 s[0:1], s[10:11], 3
	s_add_u32 s24, s8, s0
	s_mul_i32 s15, s15, s21
	s_mul_hi_u32 s0, s14, s21
	s_addc_u32 s25, s9, s1
	s_add_i32 s0, s0, s15
	v_mfma_f64_16x16x4f64 v[50:57], v[74:75], v[118:119], v[50:57]
	s_add_i32 s0, s17, s0
	s_lshl_b32 s26, s0, 3
	s_mov_b32 s27, 0x20000
	v_mfma_f64_16x16x4f64 v[42:49], v[74:75], v[130:131], v[42:49]
	v_mfma_f64_16x16x4f64 v[34:41], v[74:75], v[134:135], v[34:41]
	;; [unrolled: 1-line block ×10, first 2 shown]
	buffer_load_dword v74, off, s[28:31], 0 offset:32 ; 4-byte Folded Reload
	buffer_load_dword v75, off, s[28:31], 0 offset:36 ; 4-byte Folded Reload
	;; [unrolled: 1-line block ×8, first 2 shown]
	v_mfma_f64_16x16x4f64 v[58:65], v[66:67], v[122:123], v[58:65]
	v_mfma_f64_16x16x4f64 v[26:33], v[248:249], v[132:133], v[26:33]
	;; [unrolled: 1-line block ×12, first 2 shown]
	s_waitcnt vmcnt(10)
	v_mfma_f64_16x16x4f64 v[50:57], v[66:67], v[70:71], v[50:57]
	v_mfma_f64_16x16x4f64 v[10:17], v[220:221], v[70:71], v[10:17]
	s_waitcnt vmcnt(8)
	v_mfma_f64_16x16x4f64 v[50:57], v[68:69], v[72:73], v[50:57]
	v_mfma_f64_16x16x4f64 v[10:17], v[222:223], v[72:73], v[10:17]
	;; [unrolled: 3-line block ×4, first 2 shown]
	v_mfma_f64_16x16x4f64 v[42:49], v[68:69], v[76:77], v[42:49]
	buffer_load_dword v66, off, s[28:31], 0 offset:112 ; 4-byte Folded Reload
	buffer_load_dword v67, off, s[28:31], 0 offset:116 ; 4-byte Folded Reload
	buffer_load_dword v68, off, s[28:31], 0 offset:120 ; 4-byte Folded Reload
	buffer_load_dword v69, off, s[28:31], 0 offset:124 ; 4-byte Folded Reload
	buffer_load_dword v100, off, s[28:31], 0 offset:208 ; 4-byte Folded Reload
	buffer_load_dword v101, off, s[28:31], 0 offset:212 ; 4-byte Folded Reload
	buffer_load_dword v102, off, s[28:31], 0 offset:216 ; 4-byte Folded Reload
	buffer_load_dword v103, off, s[28:31], 0 offset:220 ; 4-byte Folded Reload
	buffer_load_dword v96, off, s[28:31], 0 offset:176 ; 4-byte Folded Reload
	buffer_load_dword v97, off, s[28:31], 0 offset:180 ; 4-byte Folded Reload
	buffer_load_dword v98, off, s[28:31], 0 offset:184 ; 4-byte Folded Reload
	buffer_load_dword v99, off, s[28:31], 0 offset:188 ; 4-byte Folded Reload
	buffer_load_dword v106, off, s[28:31], 0 offset:272 ; 4-byte Folded Reload
	buffer_load_dword v107, off, s[28:31], 0 offset:276 ; 4-byte Folded Reload
	buffer_load_dword v108, off, s[28:31], 0 offset:280 ; 4-byte Folded Reload
	buffer_load_dword v109, off, s[28:31], 0 offset:284 ; 4-byte Folded Reload
	buffer_load_dword v90, off, s[28:31], 0 offset:128 ; 4-byte Folded Reload
	buffer_load_dword v91, off, s[28:31], 0 offset:132 ; 4-byte Folded Reload
	buffer_load_dword v92, off, s[28:31], 0 offset:136 ; 4-byte Folded Reload
	buffer_load_dword v93, off, s[28:31], 0 offset:140 ; 4-byte Folded Reload
	v_mfma_f64_16x16x4f64 v[26:33], v[222:223], v[76:77], v[26:33]
	buffer_load_dword v76, off, s[28:31], 0 offset:96 ; 4-byte Folded Reload
	buffer_load_dword v77, off, s[28:31], 0 offset:100 ; 4-byte Folded Reload
	;; [unrolled: 1-line block ×12, first 2 shown]
	s_waitcnt vmcnt(32)
	v_mfma_f64_16x16x4f64 v[58:65], v[196:197], v[118:119], v[58:65]
	v_mfma_f64_16x16x4f64 v[18:25], v[180:181], v[118:119], v[18:25]
	s_waitcnt vmcnt(30)
	v_mfma_f64_16x16x4f64 v[50:57], v[194:195], v[66:67], v[50:57]
	s_waitcnt vmcnt(26)
	v_mfma_f64_16x16x4f64 v[42:49], v[194:195], v[100:101], v[42:49]
	v_mfma_f64_16x16x4f64 v[26:33], v[178:179], v[100:101], v[26:33]
	s_waitcnt vmcnt(22)
	v_mfma_f64_16x16x4f64 v[34:41], v[194:195], v[96:97], v[34:41]
	v_mfma_f64_16x16x4f64 v[2:9], v[178:179], v[96:97], v[2:9]
	;; [unrolled: 1-line block ×3, first 2 shown]
	s_waitcnt vmcnt(18)
	v_mfma_f64_16x16x4f64 v[58:65], v[190:191], v[106:107], v[58:65]
	v_mfma_f64_16x16x4f64 v[18:25], v[174:175], v[106:107], v[18:25]
	v_mfma_f64_16x16x4f64 v[50:57], v[196:197], v[68:69], v[50:57]
	v_mfma_f64_16x16x4f64 v[42:49], v[196:197], v[102:103], v[42:49]
	v_mfma_f64_16x16x4f64 v[26:33], v[180:181], v[102:103], v[26:33]
	buffer_load_dword v100, off, s[28:31], 0 offset:192 ; 4-byte Folded Reload
	buffer_load_dword v101, off, s[28:31], 0 offset:196 ; 4-byte Folded Reload
	;; [unrolled: 1-line block ×12, first 2 shown]
	v_mfma_f64_16x16x4f64 v[34:41], v[196:197], v[98:99], v[34:41]
	v_mfma_f64_16x16x4f64 v[2:9], v[180:181], v[98:99], v[2:9]
	;; [unrolled: 1-line block ×3, first 2 shown]
	s_waitcnt vmcnt(26)
	v_mfma_f64_16x16x4f64 v[42:49], v[190:191], v[90:91], v[42:49]
	v_mfma_f64_16x16x4f64 v[26:33], v[174:175], v[90:91], v[26:33]
	;; [unrolled: 1-line block ×5, first 2 shown]
	s_waitcnt vmcnt(22)
	v_mfma_f64_16x16x4f64 v[34:41], v[190:191], v[76:77], v[34:41]
	v_mfma_f64_16x16x4f64 v[2:9], v[174:175], v[76:77], v[2:9]
	buffer_load_dword v74, off, s[28:31], 0 offset:80 ; 4-byte Folded Reload
	buffer_load_dword v75, off, s[28:31], 0 offset:84 ; 4-byte Folded Reload
	;; [unrolled: 1-line block ×8, first 2 shown]
	v_mfma_f64_16x16x4f64 v[42:49], v[192:193], v[92:93], v[42:49]
	v_mfma_f64_16x16x4f64 v[26:33], v[176:177], v[92:93], v[26:33]
	buffer_load_dword v90, off, s[28:31], 0 offset:224 ; 4-byte Folded Reload
	buffer_load_dword v91, off, s[28:31], 0 offset:228 ; 4-byte Folded Reload
	;; [unrolled: 1-line block ×4, first 2 shown]
	v_mfma_f64_16x16x4f64 v[10:17], v[174:175], v[210:211], v[10:17]
	s_waitcnt vmcnt(32)
	v_mfma_f64_16x16x4f64 v[34:41], v[192:193], v[78:79], v[34:41]
	v_mfma_f64_16x16x4f64 v[2:9], v[176:177], v[78:79], v[2:9]
	buffer_load_dword v78, off, s[28:31], 0 offset:144 ; 4-byte Folded Reload
	buffer_load_dword v79, off, s[28:31], 0 offset:148 ; 4-byte Folded Reload
	;; [unrolled: 1-line block ×4, first 2 shown]
	v_mfma_f64_16x16x4f64 v[50:57], v[192:193], v[212:213], v[50:57]
	s_waitcnt vmcnt(34)
	v_mfma_f64_16x16x4f64 v[58:65], v[170:171], v[114:115], v[58:65]
	v_mfma_f64_16x16x4f64 v[18:25], v[154:155], v[114:115], v[18:25]
	;; [unrolled: 1-line block ×3, first 2 shown]
	s_waitcnt vmcnt(30)
	v_mfma_f64_16x16x4f64 v[50:57], v[170:171], v[70:71], v[50:57]
	v_mfma_f64_16x16x4f64 v[58:65], v[172:173], v[116:117], v[58:65]
	;; [unrolled: 1-line block ×4, first 2 shown]
	s_waitcnt vmcnt(28)
	v_mfma_f64_16x16x4f64 v[50:57], v[172:173], v[72:73], v[50:57]
	v_mfma_f64_16x16x4f64 v[10:17], v[156:157], v[72:73], v[10:17]
	;; [unrolled: 1-line block ×7, first 2 shown]
	s_waitcnt lgkmcnt(1)
	v_mfma_f64_16x16x4f64 v[10:17], v[86:87], v[142:143], v[10:17]
	v_mfma_f64_16x16x4f64 v[50:57], v[112:113], v[144:145], v[50:57]
	;; [unrolled: 1-line block ×3, first 2 shown]
	s_waitcnt lgkmcnt(0)
	v_mfma_f64_16x16x4f64 v[50:57], v[82:83], v[138:139], v[50:57]
	s_waitcnt vmcnt(26)
	v_mfma_f64_16x16x4f64 v[42:49], v[170:171], v[100:101], v[42:49]
	s_waitcnt vmcnt(22)
	v_mfma_f64_16x16x4f64 v[34:41], v[170:171], v[94:95], v[34:41]
	v_mfma_f64_16x16x4f64 v[26:33], v[154:155], v[100:101], v[26:33]
	;; [unrolled: 1-line block ×3, first 2 shown]
	s_waitcnt vmcnt(18)
	v_mfma_f64_16x16x4f64 v[58:65], v[166:167], v[104:105], v[58:65]
	v_mfma_f64_16x16x4f64 v[18:25], v[150:151], v[104:105], v[18:25]
	;; [unrolled: 1-line block ×8, first 2 shown]
	s_waitcnt vmcnt(16)
	v_mfma_f64_16x16x4f64 v[58:65], v[168:169], v[106:107], v[58:65]
	v_mfma_f64_16x16x4f64 v[18:25], v[152:153], v[106:107], v[18:25]
	;; [unrolled: 1-line block ×3, first 2 shown]
	s_waitcnt vmcnt(14)
	v_mfma_f64_16x16x4f64 v[42:49], v[166:167], v[74:75], v[42:49]
	s_waitcnt vmcnt(10)
	v_mfma_f64_16x16x4f64 v[34:41], v[166:167], v[66:67], v[34:41]
	v_mfma_f64_16x16x4f64 v[26:33], v[150:151], v[74:75], v[26:33]
	buffer_load_dword v72, off, s[28:31], 0 offset:16 ; 4-byte Folded Reload
	buffer_load_dword v73, off, s[28:31], 0 offset:20 ; 4-byte Folded Reload
	;; [unrolled: 1-line block ×5, first 2 shown]
	v_mfma_f64_16x16x4f64 v[2:9], v[150:151], v[66:67], v[2:9]
	buffer_load_dword v66, off, s[28:31], 0 offset:772 ; 4-byte Folded Reload
	buffer_load_dword v67, off, s[28:31], 0 offset:780 ; 4-byte Folded Reload
	s_waitcnt lgkmcnt(0)
	s_barrier
	v_mfma_f64_16x16x4f64 v[58:65], v[110:111], v[182:183], v[58:65]
	v_mfma_f64_16x16x4f64 v[42:49], v[168:169], v[76:77], v[42:49]
	s_waitcnt vmcnt(15)
	v_mfma_f64_16x16x4f64 v[34:41], v[168:169], v[68:69], v[34:41]
	v_mfma_f64_16x16x4f64 v[2:9], v[152:153], v[68:69], v[2:9]
	;; [unrolled: 1-line block ×5, first 2 shown]
	s_waitcnt vmcnt(13)
	v_mfma_f64_16x16x4f64 v[42:49], v[110:111], v[90:91], v[42:49]
	s_waitcnt vmcnt(9)
	v_mfma_f64_16x16x4f64 v[34:41], v[110:111], v[78:79], v[34:41]
	v_mfma_f64_16x16x4f64 v[2:9], v[86:87], v[78:79], v[2:9]
	;; [unrolled: 1-line block ×6, first 2 shown]
	s_waitcnt vmcnt(7)
	v_mfma_f64_16x16x4f64 v[34:41], v[112:113], v[80:81], v[34:41]
	v_mfma_f64_16x16x4f64 v[2:9], v[88:89], v[80:81], v[2:9]
	;; [unrolled: 1-line block ×10, first 2 shown]
	s_waitcnt vmcnt(5)
	v_mfma_f64_16x16x4f64 v[42:49], v[82:83], v[72:73], v[42:49]
	s_waitcnt vmcnt(2)
	v_lshl_or_b32 v69, s12, 6, v70
	v_cmp_gt_i32_e64 s[6:7], s16, v69
	s_waitcnt vmcnt(1)
	v_lshlrev_b32_e32 v0, 3, v66
	v_lshlrev_b32_e32 v66, 1, v66
	v_and_b32_e32 v1, 0x200, v0
	v_and_b32_e32 v66, 0x60, v66
	;; [unrolled: 1-line block ×3, first 2 shown]
	s_waitcnt vmcnt(0)
	v_or3_b32 v67, v66, v1, v67
	v_or_b32_e32 v66, s13, v68
	v_mad_u64_u32 v[0:1], s[2:3], v69, s21, v[66:67]
	v_lshlrev_b32_e32 v1, 3, v67
	v_add_u32_e32 v67, 0x800, v1
	ds_write2_b64 v67, v[64:65], v[56:57] offset0:128 offset1:144
	ds_write2_b64 v67, v[62:63], v[54:55] offset1:16
	ds_write2_b64 v1, v[60:61], v[52:53] offset0:128 offset1:144
	ds_write2_b64 v1, v[58:59], v[50:51] offset1:16
	s_waitcnt lgkmcnt(0)
	s_barrier
	v_lshlrev_b32_e32 v50, 3, v68
	v_lshl_or_b32 v58, v70, 8, v50
	ds_read_b128 v[50:53], v58
	v_cmp_gt_i32_e32 vcc, s17, v66
	s_and_b64 s[0:1], s[6:7], vcc
	v_bfrev_b32_e32 v60, 1
	v_lshlrev_b32_e32 v59, 3, v0
	v_cndmask_b32_e64 v54, v60, 0, s[0:1]
	v_add_u32_e32 v61, v54, v59
	ds_read_b128 v[54:57], v58 offset:16
	s_waitcnt lgkmcnt(1)
	buffer_store_dwordx4 v[50:53], v61, s[24:27], 0 offen
	v_mfma_f64_16x16x4f64 v[42:49], v[84:85], v[74:75], v[42:49]
	v_or_b32_e32 v50, 2, v66
	v_cmp_gt_i32_e64 s[2:3], s17, v50
	s_and_b64 s[0:1], s[6:7], s[2:3]
	v_cndmask_b32_e64 v50, v60, 0, s[0:1]
	v_add_u32_e32 v50, v59, v50
	s_waitcnt lgkmcnt(0)
	buffer_store_dwordx4 v[54:57], v50, s[24:27], 0 offen offset:16
	ds_read_b128 v[50:53], v58 offset:32
	v_or_b32_e32 v54, 4, v66
	v_cmp_gt_i32_e64 s[0:1], s17, v54
	s_and_b64 s[4:5], s[6:7], s[0:1]
	v_cndmask_b32_e64 v54, v60, 0, s[4:5]
	v_add_u32_e32 v61, v59, v54
	ds_read_b128 v[54:57], v58 offset:48
	s_waitcnt lgkmcnt(1)
	buffer_store_dwordx4 v[50:53], v61, s[24:27], 0 offen offset:32
	v_mfma_f64_16x16x4f64 v[26:33], v[226:227], v[72:73], v[26:33]
	v_or_b32_e32 v50, 6, v66
	v_cmp_gt_i32_e64 s[4:5], s17, v50
	s_and_b64 s[8:9], s[6:7], s[4:5]
	v_cndmask_b32_e64 v50, v60, 0, s[8:9]
	v_add_u32_e32 v50, v59, v50
	s_waitcnt lgkmcnt(0)
	buffer_store_dwordx4 v[54:57], v50, s[24:27], 0 offen offset:48
	s_waitcnt lgkmcnt(0)
	s_barrier
	ds_write2_b64 v67, v[48:49], v[40:41] offset0:128 offset1:144
	ds_write2_b64 v67, v[46:47], v[38:39] offset1:16
	ds_write2_b64 v1, v[44:45], v[36:37] offset0:128 offset1:144
	ds_write2_b64 v1, v[42:43], v[34:35] offset1:16
	s_waitcnt lgkmcnt(0)
	s_barrier
	ds_read_b128 v[34:37], v58
	v_or_b32_e32 v50, 32, v66
	v_cmp_gt_i32_e64 s[8:9], s17, v50
	s_and_b64 s[10:11], s[6:7], s[8:9]
	v_add_u32_e32 v51, 32, v0
	v_cndmask_b32_e64 v38, v60, 0, s[10:11]
	v_lshl_add_u32 v42, v51, 3, v38
	ds_read_b128 v[38:41], v58 offset:16
	s_waitcnt lgkmcnt(1)
	buffer_store_dwordx4 v[34:37], v42, s[24:27], 0 offen
	v_mfma_f64_16x16x4f64 v[26:33], v[228:229], v[74:75], v[26:33]
	v_or_b32_e32 v34, 34, v66
	v_cmp_gt_i32_e64 s[10:11], s17, v34
	s_and_b64 s[12:13], s[6:7], s[10:11]
	v_cndmask_b32_e64 v34, v60, 0, s[12:13]
	v_add_u32_e32 v34, v59, v34
	s_waitcnt lgkmcnt(0)
	buffer_store_dwordx4 v[38:41], v34, s[24:27], 0 offen offset:272
	ds_read_b128 v[34:37], v58 offset:32
	v_or_b32_e32 v38, 36, v66
	v_cmp_gt_i32_e64 s[12:13], s17, v38
	s_and_b64 s[14:15], s[6:7], s[12:13]
	v_cndmask_b32_e64 v38, v60, 0, s[14:15]
	v_add_u32_e32 v42, v59, v38
	ds_read_b128 v[38:41], v58 offset:48
	s_waitcnt lgkmcnt(1)
	buffer_store_dwordx4 v[34:37], v42, s[24:27], 0 offen offset:288
	s_nop 0
	v_or_b32_e32 v34, 38, v66
	v_cmp_gt_i32_e64 s[14:15], s17, v34
	s_and_b64 s[6:7], s[6:7], s[14:15]
	s_lshl_b32 s17, s21, 5
	v_cndmask_b32_e64 v34, v60, 0, s[6:7]
	v_add_u32_e32 v34, v59, v34
	s_waitcnt lgkmcnt(0)
	buffer_store_dwordx4 v[38:41], v34, s[24:27], 0 offen offset:304
	s_waitcnt lgkmcnt(0)
	s_barrier
	ds_write2_b64 v67, v[32:33], v[8:9] offset0:128 offset1:144
	ds_write2_b64 v67, v[30:31], v[6:7] offset1:16
	ds_write2_b64 v1, v[28:29], v[4:5] offset0:128 offset1:144
	ds_write2_b64 v1, v[26:27], v[2:3] offset1:16
	s_waitcnt lgkmcnt(0)
	s_barrier
	ds_read_b128 v[2:5], v58
	v_or_b32_e32 v34, 32, v69
	v_cmp_gt_i32_e64 s[6:7], s16, v34
	s_and_b64 s[8:9], s[6:7], s[8:9]
	s_and_b64 s[2:3], s[6:7], s[2:3]
	;; [unrolled: 1-line block ×3, first 2 shown]
	v_add_lshl_u32 v26, v51, s17, 3
	v_cndmask_b32_e64 v6, v60, 0, s[8:9]
	s_and_b64 s[8:9], s[6:7], s[10:11]
	v_add_u32_e32 v27, v26, v6
	ds_read_b128 v[6:9], v58 offset:16
	s_waitcnt lgkmcnt(1)
	buffer_store_dwordx4 v[2:5], v27, s[24:27], 0 offen
	v_mov_b32_e32 v27, 0x80000020
	v_mov_b32_e32 v2, 0x80000010
	v_cndmask_b32_e64 v2, v2, 16, s[8:9]
	s_and_b64 s[8:9], s[6:7], s[12:13]
	v_add_u32_e32 v2, v26, v2
	s_waitcnt lgkmcnt(0)
	buffer_store_dwordx4 v[6:9], v2, s[24:27], 0 offen
	ds_read_b128 v[2:5], v58 offset:32
	ds_read_b128 v[6:9], v58 offset:48
	v_cndmask_b32_e64 v27, v27, 32, s[8:9]
	s_and_b64 s[8:9], s[6:7], s[14:15]
	v_add_u32_e32 v27, v26, v27
	s_waitcnt lgkmcnt(1)
	buffer_store_dwordx4 v[2:5], v27, s[24:27], 0 offen
	s_nop 0
	v_mov_b32_e32 v2, 0x80000030
	v_cndmask_b32_e64 v2, v2, 48, s[8:9]
	s_and_b64 s[8:9], vcc, s[6:7]
	v_add_u32_e32 v2, v26, v2
	s_waitcnt lgkmcnt(0)
	buffer_store_dwordx4 v[6:9], v2, s[24:27], 0 offen
	s_waitcnt lgkmcnt(0)
	s_barrier
	ds_write2_b64 v67, v[24:25], v[16:17] offset0:128 offset1:144
	ds_write2_b64 v67, v[22:23], v[14:15] offset1:16
	ds_write2_b64 v1, v[20:21], v[12:13] offset0:128 offset1:144
	ds_write2_b64 v1, v[18:19], v[10:11] offset1:16
	s_waitcnt lgkmcnt(0)
	s_barrier
	ds_read_b128 v[2:5], v58
	ds_read_b128 v[6:9], v58 offset:16
	v_add_lshl_u32 v10, v0, s17, 3
	v_cndmask_b32_e64 v0, v60, 0, s[8:9]
	v_add_u32_e32 v0, v0, v10
	s_waitcnt lgkmcnt(1)
	buffer_store_dwordx4 v[2:5], v0, s[24:27], 0 offen
	v_cndmask_b32_e64 v0, v60, 0, s[2:3]
	v_add_u32_e32 v0, v10, v0
	s_waitcnt lgkmcnt(0)
	buffer_store_dwordx4 v[6:9], v0, s[24:27], 0 offen offset:16
	ds_read_b128 v[0:3], v58 offset:32
	ds_read_b128 v[4:7], v58 offset:48
	v_cndmask_b32_e64 v8, v60, 0, s[0:1]
	s_and_b64 s[0:1], s[6:7], s[4:5]
	v_add_u32_e32 v8, v10, v8
	s_waitcnt lgkmcnt(1)
	buffer_store_dwordx4 v[0:3], v8, s[24:27], 0 offen offset:32
	s_nop 0
	v_cndmask_b32_e64 v0, v60, 0, s[0:1]
	v_add_u32_e32 v0, v10, v0
	s_waitcnt lgkmcnt(0)
	buffer_store_dwordx4 v[4:7], v0, s[24:27], 0 offen offset:48
	s_endpgm
	.section	.rodata,"a",@progbits
	.p2align	6, 0x0
	.amdhsa_kernel _ZN2ck27kernel_gemm_xdl_cshuffle_v3INS_28GridwiseGemm_xdl_cshuffle_v3INS_13tensor_layout4gemm8RowMajorENS3_11ColumnMajorES4_dddddNS_16tensor_operation12element_wise11PassThroughES8_S8_LNS6_6device18GemmSpecializationE0ELi128ELi64ELi64ELi64ELi4ELi4ELi16ELi16ELi2ELi4ENS_8SequenceIJLi4ELi32ELi1EEEENSB_IJLi1ELi0ELi2EEEESD_Li2ELi2ELi2ELb0ELi0ESC_SD_SD_Li2ELi2ELi2ELb0ELi0ELi1ELi2ENSB_IJLi1ELi32ELi1ELi4EEEELi2ELNS_26BlockGemmPipelineSchedulerE0ELNS_24BlockGemmPipelineVersionE2EddLb0ELb0ELb0ELi0ELb0EEELb1ELNS_25InMemoryDataOperationEnumE0ELi2ELNS_10TailNumberE10EEEvNT_8ArgumentE
		.amdhsa_group_segment_fixed_size 65536
		.amdhsa_private_segment_fixed_size 788
		.amdhsa_kernarg_size 112
		.amdhsa_user_sgpr_count 6
		.amdhsa_user_sgpr_private_segment_buffer 1
		.amdhsa_user_sgpr_dispatch_ptr 0
		.amdhsa_user_sgpr_queue_ptr 0
		.amdhsa_user_sgpr_kernarg_segment_ptr 1
		.amdhsa_user_sgpr_dispatch_id 0
		.amdhsa_user_sgpr_flat_scratch_init 0
		.amdhsa_user_sgpr_kernarg_preload_length 0
		.amdhsa_user_sgpr_kernarg_preload_offset 0
		.amdhsa_user_sgpr_private_segment_size 0
		.amdhsa_uses_dynamic_stack 0
		.amdhsa_system_sgpr_private_segment_wavefront_offset 1
		.amdhsa_system_sgpr_workgroup_id_x 1
		.amdhsa_system_sgpr_workgroup_id_y 0
		.amdhsa_system_sgpr_workgroup_id_z 1
		.amdhsa_system_sgpr_workgroup_info 0
		.amdhsa_system_vgpr_workitem_id 0
		.amdhsa_next_free_vgpr 256
		.amdhsa_next_free_sgpr 32
		.amdhsa_accum_offset 256
		.amdhsa_reserve_vcc 1
		.amdhsa_reserve_flat_scratch 0
		.amdhsa_float_round_mode_32 0
		.amdhsa_float_round_mode_16_64 0
		.amdhsa_float_denorm_mode_32 3
		.amdhsa_float_denorm_mode_16_64 3
		.amdhsa_dx10_clamp 1
		.amdhsa_ieee_mode 1
		.amdhsa_fp16_overflow 0
		.amdhsa_tg_split 0
		.amdhsa_exception_fp_ieee_invalid_op 0
		.amdhsa_exception_fp_denorm_src 0
		.amdhsa_exception_fp_ieee_div_zero 0
		.amdhsa_exception_fp_ieee_overflow 0
		.amdhsa_exception_fp_ieee_underflow 0
		.amdhsa_exception_fp_ieee_inexact 0
		.amdhsa_exception_int_div_zero 0
	.end_amdhsa_kernel
	.section	.text._ZN2ck27kernel_gemm_xdl_cshuffle_v3INS_28GridwiseGemm_xdl_cshuffle_v3INS_13tensor_layout4gemm8RowMajorENS3_11ColumnMajorES4_dddddNS_16tensor_operation12element_wise11PassThroughES8_S8_LNS6_6device18GemmSpecializationE0ELi128ELi64ELi64ELi64ELi4ELi4ELi16ELi16ELi2ELi4ENS_8SequenceIJLi4ELi32ELi1EEEENSB_IJLi1ELi0ELi2EEEESD_Li2ELi2ELi2ELb0ELi0ESC_SD_SD_Li2ELi2ELi2ELb0ELi0ELi1ELi2ENSB_IJLi1ELi32ELi1ELi4EEEELi2ELNS_26BlockGemmPipelineSchedulerE0ELNS_24BlockGemmPipelineVersionE2EddLb0ELb0ELb0ELi0ELb0EEELb1ELNS_25InMemoryDataOperationEnumE0ELi2ELNS_10TailNumberE10EEEvNT_8ArgumentE,"axG",@progbits,_ZN2ck27kernel_gemm_xdl_cshuffle_v3INS_28GridwiseGemm_xdl_cshuffle_v3INS_13tensor_layout4gemm8RowMajorENS3_11ColumnMajorES4_dddddNS_16tensor_operation12element_wise11PassThroughES8_S8_LNS6_6device18GemmSpecializationE0ELi128ELi64ELi64ELi64ELi4ELi4ELi16ELi16ELi2ELi4ENS_8SequenceIJLi4ELi32ELi1EEEENSB_IJLi1ELi0ELi2EEEESD_Li2ELi2ELi2ELb0ELi0ESC_SD_SD_Li2ELi2ELi2ELb0ELi0ELi1ELi2ENSB_IJLi1ELi32ELi1ELi4EEEELi2ELNS_26BlockGemmPipelineSchedulerE0ELNS_24BlockGemmPipelineVersionE2EddLb0ELb0ELb0ELi0ELb0EEELb1ELNS_25InMemoryDataOperationEnumE0ELi2ELNS_10TailNumberE10EEEvNT_8ArgumentE,comdat
.Lfunc_end2:
	.size	_ZN2ck27kernel_gemm_xdl_cshuffle_v3INS_28GridwiseGemm_xdl_cshuffle_v3INS_13tensor_layout4gemm8RowMajorENS3_11ColumnMajorES4_dddddNS_16tensor_operation12element_wise11PassThroughES8_S8_LNS6_6device18GemmSpecializationE0ELi128ELi64ELi64ELi64ELi4ELi4ELi16ELi16ELi2ELi4ENS_8SequenceIJLi4ELi32ELi1EEEENSB_IJLi1ELi0ELi2EEEESD_Li2ELi2ELi2ELb0ELi0ESC_SD_SD_Li2ELi2ELi2ELb0ELi0ELi1ELi2ENSB_IJLi1ELi32ELi1ELi4EEEELi2ELNS_26BlockGemmPipelineSchedulerE0ELNS_24BlockGemmPipelineVersionE2EddLb0ELb0ELb0ELi0ELb0EEELb1ELNS_25InMemoryDataOperationEnumE0ELi2ELNS_10TailNumberE10EEEvNT_8ArgumentE, .Lfunc_end2-_ZN2ck27kernel_gemm_xdl_cshuffle_v3INS_28GridwiseGemm_xdl_cshuffle_v3INS_13tensor_layout4gemm8RowMajorENS3_11ColumnMajorES4_dddddNS_16tensor_operation12element_wise11PassThroughES8_S8_LNS6_6device18GemmSpecializationE0ELi128ELi64ELi64ELi64ELi4ELi4ELi16ELi16ELi2ELi4ENS_8SequenceIJLi4ELi32ELi1EEEENSB_IJLi1ELi0ELi2EEEESD_Li2ELi2ELi2ELb0ELi0ESC_SD_SD_Li2ELi2ELi2ELb0ELi0ELi1ELi2ENSB_IJLi1ELi32ELi1ELi4EEEELi2ELNS_26BlockGemmPipelineSchedulerE0ELNS_24BlockGemmPipelineVersionE2EddLb0ELb0ELb0ELi0ELb0EEELb1ELNS_25InMemoryDataOperationEnumE0ELi2ELNS_10TailNumberE10EEEvNT_8ArgumentE
                                        ; -- End function
	.section	.AMDGPU.csdata,"",@progbits
; Kernel info:
; codeLenInByte = 14028
; NumSgprs: 36
; NumVgprs: 256
; NumAgprs: 0
; TotalNumVgprs: 256
; ScratchSize: 788
; MemoryBound: 0
; FloatMode: 240
; IeeeMode: 1
; LDSByteSize: 65536 bytes/workgroup (compile time only)
; SGPRBlocks: 4
; VGPRBlocks: 31
; NumSGPRsForWavesPerEU: 36
; NumVGPRsForWavesPerEU: 256
; AccumOffset: 256
; Occupancy: 1
; WaveLimiterHint : 0
; COMPUTE_PGM_RSRC2:SCRATCH_EN: 1
; COMPUTE_PGM_RSRC2:USER_SGPR: 6
; COMPUTE_PGM_RSRC2:TRAP_HANDLER: 0
; COMPUTE_PGM_RSRC2:TGID_X_EN: 1
; COMPUTE_PGM_RSRC2:TGID_Y_EN: 0
; COMPUTE_PGM_RSRC2:TGID_Z_EN: 1
; COMPUTE_PGM_RSRC2:TIDIG_COMP_CNT: 0
; COMPUTE_PGM_RSRC3_GFX90A:ACCUM_OFFSET: 63
; COMPUTE_PGM_RSRC3_GFX90A:TG_SPLIT: 0
	.section	.text._ZN2ck27kernel_gemm_xdl_cshuffle_v3INS_28GridwiseGemm_xdl_cshuffle_v3INS_13tensor_layout4gemm8RowMajorENS3_11ColumnMajorES4_dddddNS_16tensor_operation12element_wise11PassThroughES8_S8_LNS6_6device18GemmSpecializationE0ELi128ELi64ELi64ELi64ELi4ELi4ELi16ELi16ELi2ELi2ENS_8SequenceIJLi4ELi32ELi1EEEENSB_IJLi1ELi0ELi2EEEESD_Li2ELi2ELi2ELb0ELi0ESC_SD_SD_Li2ELi2ELi2ELb0ELi0ELi1ELi2ENSB_IJLi1ELi32ELi1ELi4EEEELi2ELNS_26BlockGemmPipelineSchedulerE0ELNS_24BlockGemmPipelineVersionE2EddLb0ELb0ELb0ELi0ELb0EEELb1ELNS_25InMemoryDataOperationEnumE1ELi2ELNS_10TailNumberE10EEEvNT_8ArgumentE,"axG",@progbits,_ZN2ck27kernel_gemm_xdl_cshuffle_v3INS_28GridwiseGemm_xdl_cshuffle_v3INS_13tensor_layout4gemm8RowMajorENS3_11ColumnMajorES4_dddddNS_16tensor_operation12element_wise11PassThroughES8_S8_LNS6_6device18GemmSpecializationE0ELi128ELi64ELi64ELi64ELi4ELi4ELi16ELi16ELi2ELi2ENS_8SequenceIJLi4ELi32ELi1EEEENSB_IJLi1ELi0ELi2EEEESD_Li2ELi2ELi2ELb0ELi0ESC_SD_SD_Li2ELi2ELi2ELb0ELi0ELi1ELi2ENSB_IJLi1ELi32ELi1ELi4EEEELi2ELNS_26BlockGemmPipelineSchedulerE0ELNS_24BlockGemmPipelineVersionE2EddLb0ELb0ELb0ELi0ELb0EEELb1ELNS_25InMemoryDataOperationEnumE1ELi2ELNS_10TailNumberE10EEEvNT_8ArgumentE,comdat
	.protected	_ZN2ck27kernel_gemm_xdl_cshuffle_v3INS_28GridwiseGemm_xdl_cshuffle_v3INS_13tensor_layout4gemm8RowMajorENS3_11ColumnMajorES4_dddddNS_16tensor_operation12element_wise11PassThroughES8_S8_LNS6_6device18GemmSpecializationE0ELi128ELi64ELi64ELi64ELi4ELi4ELi16ELi16ELi2ELi2ENS_8SequenceIJLi4ELi32ELi1EEEENSB_IJLi1ELi0ELi2EEEESD_Li2ELi2ELi2ELb0ELi0ESC_SD_SD_Li2ELi2ELi2ELb0ELi0ELi1ELi2ENSB_IJLi1ELi32ELi1ELi4EEEELi2ELNS_26BlockGemmPipelineSchedulerE0ELNS_24BlockGemmPipelineVersionE2EddLb0ELb0ELb0ELi0ELb0EEELb1ELNS_25InMemoryDataOperationEnumE1ELi2ELNS_10TailNumberE10EEEvNT_8ArgumentE ; -- Begin function _ZN2ck27kernel_gemm_xdl_cshuffle_v3INS_28GridwiseGemm_xdl_cshuffle_v3INS_13tensor_layout4gemm8RowMajorENS3_11ColumnMajorES4_dddddNS_16tensor_operation12element_wise11PassThroughES8_S8_LNS6_6device18GemmSpecializationE0ELi128ELi64ELi64ELi64ELi4ELi4ELi16ELi16ELi2ELi2ENS_8SequenceIJLi4ELi32ELi1EEEENSB_IJLi1ELi0ELi2EEEESD_Li2ELi2ELi2ELb0ELi0ESC_SD_SD_Li2ELi2ELi2ELb0ELi0ELi1ELi2ENSB_IJLi1ELi32ELi1ELi4EEEELi2ELNS_26BlockGemmPipelineSchedulerE0ELNS_24BlockGemmPipelineVersionE2EddLb0ELb0ELb0ELi0ELb0EEELb1ELNS_25InMemoryDataOperationEnumE1ELi2ELNS_10TailNumberE10EEEvNT_8ArgumentE
	.globl	_ZN2ck27kernel_gemm_xdl_cshuffle_v3INS_28GridwiseGemm_xdl_cshuffle_v3INS_13tensor_layout4gemm8RowMajorENS3_11ColumnMajorES4_dddddNS_16tensor_operation12element_wise11PassThroughES8_S8_LNS6_6device18GemmSpecializationE0ELi128ELi64ELi64ELi64ELi4ELi4ELi16ELi16ELi2ELi2ENS_8SequenceIJLi4ELi32ELi1EEEENSB_IJLi1ELi0ELi2EEEESD_Li2ELi2ELi2ELb0ELi0ESC_SD_SD_Li2ELi2ELi2ELb0ELi0ELi1ELi2ENSB_IJLi1ELi32ELi1ELi4EEEELi2ELNS_26BlockGemmPipelineSchedulerE0ELNS_24BlockGemmPipelineVersionE2EddLb0ELb0ELb0ELi0ELb0EEELb1ELNS_25InMemoryDataOperationEnumE1ELi2ELNS_10TailNumberE10EEEvNT_8ArgumentE
	.p2align	8
	.type	_ZN2ck27kernel_gemm_xdl_cshuffle_v3INS_28GridwiseGemm_xdl_cshuffle_v3INS_13tensor_layout4gemm8RowMajorENS3_11ColumnMajorES4_dddddNS_16tensor_operation12element_wise11PassThroughES8_S8_LNS6_6device18GemmSpecializationE0ELi128ELi64ELi64ELi64ELi4ELi4ELi16ELi16ELi2ELi2ENS_8SequenceIJLi4ELi32ELi1EEEENSB_IJLi1ELi0ELi2EEEESD_Li2ELi2ELi2ELb0ELi0ESC_SD_SD_Li2ELi2ELi2ELb0ELi0ELi1ELi2ENSB_IJLi1ELi32ELi1ELi4EEEELi2ELNS_26BlockGemmPipelineSchedulerE0ELNS_24BlockGemmPipelineVersionE2EddLb0ELb0ELb0ELi0ELb0EEELb1ELNS_25InMemoryDataOperationEnumE1ELi2ELNS_10TailNumberE10EEEvNT_8ArgumentE,@function
_ZN2ck27kernel_gemm_xdl_cshuffle_v3INS_28GridwiseGemm_xdl_cshuffle_v3INS_13tensor_layout4gemm8RowMajorENS3_11ColumnMajorES4_dddddNS_16tensor_operation12element_wise11PassThroughES8_S8_LNS6_6device18GemmSpecializationE0ELi128ELi64ELi64ELi64ELi4ELi4ELi16ELi16ELi2ELi2ENS_8SequenceIJLi4ELi32ELi1EEEENSB_IJLi1ELi0ELi2EEEESD_Li2ELi2ELi2ELb0ELi0ESC_SD_SD_Li2ELi2ELi2ELb0ELi0ELi1ELi2ENSB_IJLi1ELi32ELi1ELi4EEEELi2ELNS_26BlockGemmPipelineSchedulerE0ELNS_24BlockGemmPipelineVersionE2EddLb0ELb0ELb0ELi0ELb0EEELb1ELNS_25InMemoryDataOperationEnumE1ELi2ELNS_10TailNumberE10EEEvNT_8ArgumentE: ; @_ZN2ck27kernel_gemm_xdl_cshuffle_v3INS_28GridwiseGemm_xdl_cshuffle_v3INS_13tensor_layout4gemm8RowMajorENS3_11ColumnMajorES4_dddddNS_16tensor_operation12element_wise11PassThroughES8_S8_LNS6_6device18GemmSpecializationE0ELi128ELi64ELi64ELi64ELi4ELi4ELi16ELi16ELi2ELi2ENS_8SequenceIJLi4ELi32ELi1EEEENSB_IJLi1ELi0ELi2EEEESD_Li2ELi2ELi2ELb0ELi0ESC_SD_SD_Li2ELi2ELi2ELb0ELi0ELi1ELi2ENSB_IJLi1ELi32ELi1ELi4EEEELi2ELNS_26BlockGemmPipelineSchedulerE0ELNS_24BlockGemmPipelineVersionE2EddLb0ELb0ELb0ELi0ELb0EEELb1ELNS_25InMemoryDataOperationEnumE1ELi2ELNS_10TailNumberE10EEEvNT_8ArgumentE
; %bb.0:
	s_endpgm
	.section	.rodata,"a",@progbits
	.p2align	6, 0x0
	.amdhsa_kernel _ZN2ck27kernel_gemm_xdl_cshuffle_v3INS_28GridwiseGemm_xdl_cshuffle_v3INS_13tensor_layout4gemm8RowMajorENS3_11ColumnMajorES4_dddddNS_16tensor_operation12element_wise11PassThroughES8_S8_LNS6_6device18GemmSpecializationE0ELi128ELi64ELi64ELi64ELi4ELi4ELi16ELi16ELi2ELi2ENS_8SequenceIJLi4ELi32ELi1EEEENSB_IJLi1ELi0ELi2EEEESD_Li2ELi2ELi2ELb0ELi0ESC_SD_SD_Li2ELi2ELi2ELb0ELi0ELi1ELi2ENSB_IJLi1ELi32ELi1ELi4EEEELi2ELNS_26BlockGemmPipelineSchedulerE0ELNS_24BlockGemmPipelineVersionE2EddLb0ELb0ELb0ELi0ELb0EEELb1ELNS_25InMemoryDataOperationEnumE1ELi2ELNS_10TailNumberE10EEEvNT_8ArgumentE
		.amdhsa_group_segment_fixed_size 0
		.amdhsa_private_segment_fixed_size 0
		.amdhsa_kernarg_size 112
		.amdhsa_user_sgpr_count 6
		.amdhsa_user_sgpr_private_segment_buffer 1
		.amdhsa_user_sgpr_dispatch_ptr 0
		.amdhsa_user_sgpr_queue_ptr 0
		.amdhsa_user_sgpr_kernarg_segment_ptr 1
		.amdhsa_user_sgpr_dispatch_id 0
		.amdhsa_user_sgpr_flat_scratch_init 0
		.amdhsa_user_sgpr_kernarg_preload_length 0
		.amdhsa_user_sgpr_kernarg_preload_offset 0
		.amdhsa_user_sgpr_private_segment_size 0
		.amdhsa_uses_dynamic_stack 0
		.amdhsa_system_sgpr_private_segment_wavefront_offset 0
		.amdhsa_system_sgpr_workgroup_id_x 1
		.amdhsa_system_sgpr_workgroup_id_y 0
		.amdhsa_system_sgpr_workgroup_id_z 0
		.amdhsa_system_sgpr_workgroup_info 0
		.amdhsa_system_vgpr_workitem_id 0
		.amdhsa_next_free_vgpr 1
		.amdhsa_next_free_sgpr 0
		.amdhsa_accum_offset 4
		.amdhsa_reserve_vcc 0
		.amdhsa_reserve_flat_scratch 0
		.amdhsa_float_round_mode_32 0
		.amdhsa_float_round_mode_16_64 0
		.amdhsa_float_denorm_mode_32 3
		.amdhsa_float_denorm_mode_16_64 3
		.amdhsa_dx10_clamp 1
		.amdhsa_ieee_mode 1
		.amdhsa_fp16_overflow 0
		.amdhsa_tg_split 0
		.amdhsa_exception_fp_ieee_invalid_op 0
		.amdhsa_exception_fp_denorm_src 0
		.amdhsa_exception_fp_ieee_div_zero 0
		.amdhsa_exception_fp_ieee_overflow 0
		.amdhsa_exception_fp_ieee_underflow 0
		.amdhsa_exception_fp_ieee_inexact 0
		.amdhsa_exception_int_div_zero 0
	.end_amdhsa_kernel
	.section	.text._ZN2ck27kernel_gemm_xdl_cshuffle_v3INS_28GridwiseGemm_xdl_cshuffle_v3INS_13tensor_layout4gemm8RowMajorENS3_11ColumnMajorES4_dddddNS_16tensor_operation12element_wise11PassThroughES8_S8_LNS6_6device18GemmSpecializationE0ELi128ELi64ELi64ELi64ELi4ELi4ELi16ELi16ELi2ELi2ENS_8SequenceIJLi4ELi32ELi1EEEENSB_IJLi1ELi0ELi2EEEESD_Li2ELi2ELi2ELb0ELi0ESC_SD_SD_Li2ELi2ELi2ELb0ELi0ELi1ELi2ENSB_IJLi1ELi32ELi1ELi4EEEELi2ELNS_26BlockGemmPipelineSchedulerE0ELNS_24BlockGemmPipelineVersionE2EddLb0ELb0ELb0ELi0ELb0EEELb1ELNS_25InMemoryDataOperationEnumE1ELi2ELNS_10TailNumberE10EEEvNT_8ArgumentE,"axG",@progbits,_ZN2ck27kernel_gemm_xdl_cshuffle_v3INS_28GridwiseGemm_xdl_cshuffle_v3INS_13tensor_layout4gemm8RowMajorENS3_11ColumnMajorES4_dddddNS_16tensor_operation12element_wise11PassThroughES8_S8_LNS6_6device18GemmSpecializationE0ELi128ELi64ELi64ELi64ELi4ELi4ELi16ELi16ELi2ELi2ENS_8SequenceIJLi4ELi32ELi1EEEENSB_IJLi1ELi0ELi2EEEESD_Li2ELi2ELi2ELb0ELi0ESC_SD_SD_Li2ELi2ELi2ELb0ELi0ELi1ELi2ENSB_IJLi1ELi32ELi1ELi4EEEELi2ELNS_26BlockGemmPipelineSchedulerE0ELNS_24BlockGemmPipelineVersionE2EddLb0ELb0ELb0ELi0ELb0EEELb1ELNS_25InMemoryDataOperationEnumE1ELi2ELNS_10TailNumberE10EEEvNT_8ArgumentE,comdat
.Lfunc_end3:
	.size	_ZN2ck27kernel_gemm_xdl_cshuffle_v3INS_28GridwiseGemm_xdl_cshuffle_v3INS_13tensor_layout4gemm8RowMajorENS3_11ColumnMajorES4_dddddNS_16tensor_operation12element_wise11PassThroughES8_S8_LNS6_6device18GemmSpecializationE0ELi128ELi64ELi64ELi64ELi4ELi4ELi16ELi16ELi2ELi2ENS_8SequenceIJLi4ELi32ELi1EEEENSB_IJLi1ELi0ELi2EEEESD_Li2ELi2ELi2ELb0ELi0ESC_SD_SD_Li2ELi2ELi2ELb0ELi0ELi1ELi2ENSB_IJLi1ELi32ELi1ELi4EEEELi2ELNS_26BlockGemmPipelineSchedulerE0ELNS_24BlockGemmPipelineVersionE2EddLb0ELb0ELb0ELi0ELb0EEELb1ELNS_25InMemoryDataOperationEnumE1ELi2ELNS_10TailNumberE10EEEvNT_8ArgumentE, .Lfunc_end3-_ZN2ck27kernel_gemm_xdl_cshuffle_v3INS_28GridwiseGemm_xdl_cshuffle_v3INS_13tensor_layout4gemm8RowMajorENS3_11ColumnMajorES4_dddddNS_16tensor_operation12element_wise11PassThroughES8_S8_LNS6_6device18GemmSpecializationE0ELi128ELi64ELi64ELi64ELi4ELi4ELi16ELi16ELi2ELi2ENS_8SequenceIJLi4ELi32ELi1EEEENSB_IJLi1ELi0ELi2EEEESD_Li2ELi2ELi2ELb0ELi0ESC_SD_SD_Li2ELi2ELi2ELb0ELi0ELi1ELi2ENSB_IJLi1ELi32ELi1ELi4EEEELi2ELNS_26BlockGemmPipelineSchedulerE0ELNS_24BlockGemmPipelineVersionE2EddLb0ELb0ELb0ELi0ELb0EEELb1ELNS_25InMemoryDataOperationEnumE1ELi2ELNS_10TailNumberE10EEEvNT_8ArgumentE
                                        ; -- End function
	.section	.AMDGPU.csdata,"",@progbits
; Kernel info:
; codeLenInByte = 4
; NumSgprs: 4
; NumVgprs: 0
; NumAgprs: 0
; TotalNumVgprs: 0
; ScratchSize: 0
; MemoryBound: 0
; FloatMode: 240
; IeeeMode: 1
; LDSByteSize: 0 bytes/workgroup (compile time only)
; SGPRBlocks: 0
; VGPRBlocks: 0
; NumSGPRsForWavesPerEU: 4
; NumVGPRsForWavesPerEU: 1
; AccumOffset: 4
; Occupancy: 8
; WaveLimiterHint : 0
; COMPUTE_PGM_RSRC2:SCRATCH_EN: 0
; COMPUTE_PGM_RSRC2:USER_SGPR: 6
; COMPUTE_PGM_RSRC2:TRAP_HANDLER: 0
; COMPUTE_PGM_RSRC2:TGID_X_EN: 1
; COMPUTE_PGM_RSRC2:TGID_Y_EN: 0
; COMPUTE_PGM_RSRC2:TGID_Z_EN: 0
; COMPUTE_PGM_RSRC2:TIDIG_COMP_CNT: 0
; COMPUTE_PGM_RSRC3_GFX90A:ACCUM_OFFSET: 0
; COMPUTE_PGM_RSRC3_GFX90A:TG_SPLIT: 0
	.section	.text._ZN2ck27kernel_gemm_xdl_cshuffle_v3INS_28GridwiseGemm_xdl_cshuffle_v3INS_13tensor_layout4gemm8RowMajorENS3_11ColumnMajorES4_dddddNS_16tensor_operation12element_wise11PassThroughES8_S8_LNS6_6device18GemmSpecializationE0ELi128ELi64ELi64ELi64ELi4ELi4ELi16ELi16ELi2ELi2ENS_8SequenceIJLi4ELi32ELi1EEEENSB_IJLi1ELi0ELi2EEEESD_Li2ELi2ELi2ELb0ELi0ESC_SD_SD_Li2ELi2ELi2ELb0ELi0ELi1ELi2ENSB_IJLi1ELi32ELi1ELi4EEEELi2ELNS_26BlockGemmPipelineSchedulerE0ELNS_24BlockGemmPipelineVersionE2EddLb0ELb0ELb0ELi0ELb0EEELb1ELNS_25InMemoryDataOperationEnumE0ELi2ELNS_10TailNumberE10EEEvNT_8ArgumentE,"axG",@progbits,_ZN2ck27kernel_gemm_xdl_cshuffle_v3INS_28GridwiseGemm_xdl_cshuffle_v3INS_13tensor_layout4gemm8RowMajorENS3_11ColumnMajorES4_dddddNS_16tensor_operation12element_wise11PassThroughES8_S8_LNS6_6device18GemmSpecializationE0ELi128ELi64ELi64ELi64ELi4ELi4ELi16ELi16ELi2ELi2ENS_8SequenceIJLi4ELi32ELi1EEEENSB_IJLi1ELi0ELi2EEEESD_Li2ELi2ELi2ELb0ELi0ESC_SD_SD_Li2ELi2ELi2ELb0ELi0ELi1ELi2ENSB_IJLi1ELi32ELi1ELi4EEEELi2ELNS_26BlockGemmPipelineSchedulerE0ELNS_24BlockGemmPipelineVersionE2EddLb0ELb0ELb0ELi0ELb0EEELb1ELNS_25InMemoryDataOperationEnumE0ELi2ELNS_10TailNumberE10EEEvNT_8ArgumentE,comdat
	.protected	_ZN2ck27kernel_gemm_xdl_cshuffle_v3INS_28GridwiseGemm_xdl_cshuffle_v3INS_13tensor_layout4gemm8RowMajorENS3_11ColumnMajorES4_dddddNS_16tensor_operation12element_wise11PassThroughES8_S8_LNS6_6device18GemmSpecializationE0ELi128ELi64ELi64ELi64ELi4ELi4ELi16ELi16ELi2ELi2ENS_8SequenceIJLi4ELi32ELi1EEEENSB_IJLi1ELi0ELi2EEEESD_Li2ELi2ELi2ELb0ELi0ESC_SD_SD_Li2ELi2ELi2ELb0ELi0ELi1ELi2ENSB_IJLi1ELi32ELi1ELi4EEEELi2ELNS_26BlockGemmPipelineSchedulerE0ELNS_24BlockGemmPipelineVersionE2EddLb0ELb0ELb0ELi0ELb0EEELb1ELNS_25InMemoryDataOperationEnumE0ELi2ELNS_10TailNumberE10EEEvNT_8ArgumentE ; -- Begin function _ZN2ck27kernel_gemm_xdl_cshuffle_v3INS_28GridwiseGemm_xdl_cshuffle_v3INS_13tensor_layout4gemm8RowMajorENS3_11ColumnMajorES4_dddddNS_16tensor_operation12element_wise11PassThroughES8_S8_LNS6_6device18GemmSpecializationE0ELi128ELi64ELi64ELi64ELi4ELi4ELi16ELi16ELi2ELi2ENS_8SequenceIJLi4ELi32ELi1EEEENSB_IJLi1ELi0ELi2EEEESD_Li2ELi2ELi2ELb0ELi0ESC_SD_SD_Li2ELi2ELi2ELb0ELi0ELi1ELi2ENSB_IJLi1ELi32ELi1ELi4EEEELi2ELNS_26BlockGemmPipelineSchedulerE0ELNS_24BlockGemmPipelineVersionE2EddLb0ELb0ELb0ELi0ELb0EEELb1ELNS_25InMemoryDataOperationEnumE0ELi2ELNS_10TailNumberE10EEEvNT_8ArgumentE
	.globl	_ZN2ck27kernel_gemm_xdl_cshuffle_v3INS_28GridwiseGemm_xdl_cshuffle_v3INS_13tensor_layout4gemm8RowMajorENS3_11ColumnMajorES4_dddddNS_16tensor_operation12element_wise11PassThroughES8_S8_LNS6_6device18GemmSpecializationE0ELi128ELi64ELi64ELi64ELi4ELi4ELi16ELi16ELi2ELi2ENS_8SequenceIJLi4ELi32ELi1EEEENSB_IJLi1ELi0ELi2EEEESD_Li2ELi2ELi2ELb0ELi0ESC_SD_SD_Li2ELi2ELi2ELb0ELi0ELi1ELi2ENSB_IJLi1ELi32ELi1ELi4EEEELi2ELNS_26BlockGemmPipelineSchedulerE0ELNS_24BlockGemmPipelineVersionE2EddLb0ELb0ELb0ELi0ELb0EEELb1ELNS_25InMemoryDataOperationEnumE0ELi2ELNS_10TailNumberE10EEEvNT_8ArgumentE
	.p2align	8
	.type	_ZN2ck27kernel_gemm_xdl_cshuffle_v3INS_28GridwiseGemm_xdl_cshuffle_v3INS_13tensor_layout4gemm8RowMajorENS3_11ColumnMajorES4_dddddNS_16tensor_operation12element_wise11PassThroughES8_S8_LNS6_6device18GemmSpecializationE0ELi128ELi64ELi64ELi64ELi4ELi4ELi16ELi16ELi2ELi2ENS_8SequenceIJLi4ELi32ELi1EEEENSB_IJLi1ELi0ELi2EEEESD_Li2ELi2ELi2ELb0ELi0ESC_SD_SD_Li2ELi2ELi2ELb0ELi0ELi1ELi2ENSB_IJLi1ELi32ELi1ELi4EEEELi2ELNS_26BlockGemmPipelineSchedulerE0ELNS_24BlockGemmPipelineVersionE2EddLb0ELb0ELb0ELi0ELb0EEELb1ELNS_25InMemoryDataOperationEnumE0ELi2ELNS_10TailNumberE10EEEvNT_8ArgumentE,@function
_ZN2ck27kernel_gemm_xdl_cshuffle_v3INS_28GridwiseGemm_xdl_cshuffle_v3INS_13tensor_layout4gemm8RowMajorENS3_11ColumnMajorES4_dddddNS_16tensor_operation12element_wise11PassThroughES8_S8_LNS6_6device18GemmSpecializationE0ELi128ELi64ELi64ELi64ELi4ELi4ELi16ELi16ELi2ELi2ENS_8SequenceIJLi4ELi32ELi1EEEENSB_IJLi1ELi0ELi2EEEESD_Li2ELi2ELi2ELb0ELi0ESC_SD_SD_Li2ELi2ELi2ELb0ELi0ELi1ELi2ENSB_IJLi1ELi32ELi1ELi4EEEELi2ELNS_26BlockGemmPipelineSchedulerE0ELNS_24BlockGemmPipelineVersionE2EddLb0ELb0ELb0ELi0ELb0EEELb1ELNS_25InMemoryDataOperationEnumE0ELi2ELNS_10TailNumberE10EEEvNT_8ArgumentE: ; @_ZN2ck27kernel_gemm_xdl_cshuffle_v3INS_28GridwiseGemm_xdl_cshuffle_v3INS_13tensor_layout4gemm8RowMajorENS3_11ColumnMajorES4_dddddNS_16tensor_operation12element_wise11PassThroughES8_S8_LNS6_6device18GemmSpecializationE0ELi128ELi64ELi64ELi64ELi4ELi4ELi16ELi16ELi2ELi2ENS_8SequenceIJLi4ELi32ELi1EEEENSB_IJLi1ELi0ELi2EEEESD_Li2ELi2ELi2ELb0ELi0ESC_SD_SD_Li2ELi2ELi2ELb0ELi0ELi1ELi2ENSB_IJLi1ELi32ELi1ELi4EEEELi2ELNS_26BlockGemmPipelineSchedulerE0ELNS_24BlockGemmPipelineVersionE2EddLb0ELb0ELb0ELi0ELb0EEELb1ELNS_25InMemoryDataOperationEnumE0ELi2ELNS_10TailNumberE10EEEvNT_8ArgumentE
; %bb.0:
	s_endpgm
	.section	.rodata,"a",@progbits
	.p2align	6, 0x0
	.amdhsa_kernel _ZN2ck27kernel_gemm_xdl_cshuffle_v3INS_28GridwiseGemm_xdl_cshuffle_v3INS_13tensor_layout4gemm8RowMajorENS3_11ColumnMajorES4_dddddNS_16tensor_operation12element_wise11PassThroughES8_S8_LNS6_6device18GemmSpecializationE0ELi128ELi64ELi64ELi64ELi4ELi4ELi16ELi16ELi2ELi2ENS_8SequenceIJLi4ELi32ELi1EEEENSB_IJLi1ELi0ELi2EEEESD_Li2ELi2ELi2ELb0ELi0ESC_SD_SD_Li2ELi2ELi2ELb0ELi0ELi1ELi2ENSB_IJLi1ELi32ELi1ELi4EEEELi2ELNS_26BlockGemmPipelineSchedulerE0ELNS_24BlockGemmPipelineVersionE2EddLb0ELb0ELb0ELi0ELb0EEELb1ELNS_25InMemoryDataOperationEnumE0ELi2ELNS_10TailNumberE10EEEvNT_8ArgumentE
		.amdhsa_group_segment_fixed_size 0
		.amdhsa_private_segment_fixed_size 0
		.amdhsa_kernarg_size 112
		.amdhsa_user_sgpr_count 6
		.amdhsa_user_sgpr_private_segment_buffer 1
		.amdhsa_user_sgpr_dispatch_ptr 0
		.amdhsa_user_sgpr_queue_ptr 0
		.amdhsa_user_sgpr_kernarg_segment_ptr 1
		.amdhsa_user_sgpr_dispatch_id 0
		.amdhsa_user_sgpr_flat_scratch_init 0
		.amdhsa_user_sgpr_kernarg_preload_length 0
		.amdhsa_user_sgpr_kernarg_preload_offset 0
		.amdhsa_user_sgpr_private_segment_size 0
		.amdhsa_uses_dynamic_stack 0
		.amdhsa_system_sgpr_private_segment_wavefront_offset 0
		.amdhsa_system_sgpr_workgroup_id_x 1
		.amdhsa_system_sgpr_workgroup_id_y 0
		.amdhsa_system_sgpr_workgroup_id_z 0
		.amdhsa_system_sgpr_workgroup_info 0
		.amdhsa_system_vgpr_workitem_id 0
		.amdhsa_next_free_vgpr 1
		.amdhsa_next_free_sgpr 0
		.amdhsa_accum_offset 4
		.amdhsa_reserve_vcc 0
		.amdhsa_reserve_flat_scratch 0
		.amdhsa_float_round_mode_32 0
		.amdhsa_float_round_mode_16_64 0
		.amdhsa_float_denorm_mode_32 3
		.amdhsa_float_denorm_mode_16_64 3
		.amdhsa_dx10_clamp 1
		.amdhsa_ieee_mode 1
		.amdhsa_fp16_overflow 0
		.amdhsa_tg_split 0
		.amdhsa_exception_fp_ieee_invalid_op 0
		.amdhsa_exception_fp_denorm_src 0
		.amdhsa_exception_fp_ieee_div_zero 0
		.amdhsa_exception_fp_ieee_overflow 0
		.amdhsa_exception_fp_ieee_underflow 0
		.amdhsa_exception_fp_ieee_inexact 0
		.amdhsa_exception_int_div_zero 0
	.end_amdhsa_kernel
	.section	.text._ZN2ck27kernel_gemm_xdl_cshuffle_v3INS_28GridwiseGemm_xdl_cshuffle_v3INS_13tensor_layout4gemm8RowMajorENS3_11ColumnMajorES4_dddddNS_16tensor_operation12element_wise11PassThroughES8_S8_LNS6_6device18GemmSpecializationE0ELi128ELi64ELi64ELi64ELi4ELi4ELi16ELi16ELi2ELi2ENS_8SequenceIJLi4ELi32ELi1EEEENSB_IJLi1ELi0ELi2EEEESD_Li2ELi2ELi2ELb0ELi0ESC_SD_SD_Li2ELi2ELi2ELb0ELi0ELi1ELi2ENSB_IJLi1ELi32ELi1ELi4EEEELi2ELNS_26BlockGemmPipelineSchedulerE0ELNS_24BlockGemmPipelineVersionE2EddLb0ELb0ELb0ELi0ELb0EEELb1ELNS_25InMemoryDataOperationEnumE0ELi2ELNS_10TailNumberE10EEEvNT_8ArgumentE,"axG",@progbits,_ZN2ck27kernel_gemm_xdl_cshuffle_v3INS_28GridwiseGemm_xdl_cshuffle_v3INS_13tensor_layout4gemm8RowMajorENS3_11ColumnMajorES4_dddddNS_16tensor_operation12element_wise11PassThroughES8_S8_LNS6_6device18GemmSpecializationE0ELi128ELi64ELi64ELi64ELi4ELi4ELi16ELi16ELi2ELi2ENS_8SequenceIJLi4ELi32ELi1EEEENSB_IJLi1ELi0ELi2EEEESD_Li2ELi2ELi2ELb0ELi0ESC_SD_SD_Li2ELi2ELi2ELb0ELi0ELi1ELi2ENSB_IJLi1ELi32ELi1ELi4EEEELi2ELNS_26BlockGemmPipelineSchedulerE0ELNS_24BlockGemmPipelineVersionE2EddLb0ELb0ELb0ELi0ELb0EEELb1ELNS_25InMemoryDataOperationEnumE0ELi2ELNS_10TailNumberE10EEEvNT_8ArgumentE,comdat
.Lfunc_end4:
	.size	_ZN2ck27kernel_gemm_xdl_cshuffle_v3INS_28GridwiseGemm_xdl_cshuffle_v3INS_13tensor_layout4gemm8RowMajorENS3_11ColumnMajorES4_dddddNS_16tensor_operation12element_wise11PassThroughES8_S8_LNS6_6device18GemmSpecializationE0ELi128ELi64ELi64ELi64ELi4ELi4ELi16ELi16ELi2ELi2ENS_8SequenceIJLi4ELi32ELi1EEEENSB_IJLi1ELi0ELi2EEEESD_Li2ELi2ELi2ELb0ELi0ESC_SD_SD_Li2ELi2ELi2ELb0ELi0ELi1ELi2ENSB_IJLi1ELi32ELi1ELi4EEEELi2ELNS_26BlockGemmPipelineSchedulerE0ELNS_24BlockGemmPipelineVersionE2EddLb0ELb0ELb0ELi0ELb0EEELb1ELNS_25InMemoryDataOperationEnumE0ELi2ELNS_10TailNumberE10EEEvNT_8ArgumentE, .Lfunc_end4-_ZN2ck27kernel_gemm_xdl_cshuffle_v3INS_28GridwiseGemm_xdl_cshuffle_v3INS_13tensor_layout4gemm8RowMajorENS3_11ColumnMajorES4_dddddNS_16tensor_operation12element_wise11PassThroughES8_S8_LNS6_6device18GemmSpecializationE0ELi128ELi64ELi64ELi64ELi4ELi4ELi16ELi16ELi2ELi2ENS_8SequenceIJLi4ELi32ELi1EEEENSB_IJLi1ELi0ELi2EEEESD_Li2ELi2ELi2ELb0ELi0ESC_SD_SD_Li2ELi2ELi2ELb0ELi0ELi1ELi2ENSB_IJLi1ELi32ELi1ELi4EEEELi2ELNS_26BlockGemmPipelineSchedulerE0ELNS_24BlockGemmPipelineVersionE2EddLb0ELb0ELb0ELi0ELb0EEELb1ELNS_25InMemoryDataOperationEnumE0ELi2ELNS_10TailNumberE10EEEvNT_8ArgumentE
                                        ; -- End function
	.section	.AMDGPU.csdata,"",@progbits
; Kernel info:
; codeLenInByte = 4
; NumSgprs: 4
; NumVgprs: 0
; NumAgprs: 0
; TotalNumVgprs: 0
; ScratchSize: 0
; MemoryBound: 0
; FloatMode: 240
; IeeeMode: 1
; LDSByteSize: 0 bytes/workgroup (compile time only)
; SGPRBlocks: 0
; VGPRBlocks: 0
; NumSGPRsForWavesPerEU: 4
; NumVGPRsForWavesPerEU: 1
; AccumOffset: 4
; Occupancy: 8
; WaveLimiterHint : 0
; COMPUTE_PGM_RSRC2:SCRATCH_EN: 0
; COMPUTE_PGM_RSRC2:USER_SGPR: 6
; COMPUTE_PGM_RSRC2:TRAP_HANDLER: 0
; COMPUTE_PGM_RSRC2:TGID_X_EN: 1
; COMPUTE_PGM_RSRC2:TGID_Y_EN: 0
; COMPUTE_PGM_RSRC2:TGID_Z_EN: 0
; COMPUTE_PGM_RSRC2:TIDIG_COMP_CNT: 0
; COMPUTE_PGM_RSRC3_GFX90A:ACCUM_OFFSET: 0
; COMPUTE_PGM_RSRC3_GFX90A:TG_SPLIT: 0
	.text
	.p2alignl 6, 3212836864
	.fill 256, 4, 3212836864
	.type	__hip_cuid_596486008d92debc,@object ; @__hip_cuid_596486008d92debc
	.section	.bss,"aw",@nobits
	.globl	__hip_cuid_596486008d92debc
__hip_cuid_596486008d92debc:
	.byte	0                               ; 0x0
	.size	__hip_cuid_596486008d92debc, 1

	.ident	"AMD clang version 19.0.0git (https://github.com/RadeonOpenCompute/llvm-project roc-6.4.0 25133 c7fe45cf4b819c5991fe208aaa96edf142730f1d)"
	.section	".note.GNU-stack","",@progbits
	.addrsig
	.addrsig_sym __hip_cuid_596486008d92debc
	.amdgpu_metadata
---
amdhsa.kernels:
  - .agpr_count:     0
    .args:           []
    .group_segment_fixed_size: 0
    .kernarg_segment_align: 4
    .kernarg_segment_size: 0
    .language:       OpenCL C
    .language_version:
      - 2
      - 0
    .max_flat_workgroup_size: 1024
    .name:           _ZN2ckL12flush_icacheEv
    .private_segment_fixed_size: 0
    .sgpr_count:     4
    .sgpr_spill_count: 0
    .symbol:         _ZN2ckL12flush_icacheEv.kd
    .uniform_work_group_size: 1
    .uses_dynamic_stack: false
    .vgpr_count:     0
    .vgpr_spill_count: 0
    .wavefront_size: 64
  - .agpr_count:     0
    .args:
      - .offset:         0
        .size:           112
        .value_kind:     by_value
    .group_segment_fixed_size: 65536
    .kernarg_segment_align: 8
    .kernarg_segment_size: 112
    .language:       OpenCL C
    .language_version:
      - 2
      - 0
    .max_flat_workgroup_size: 128
    .name:           _ZN2ck27kernel_gemm_xdl_cshuffle_v3INS_28GridwiseGemm_xdl_cshuffle_v3INS_13tensor_layout4gemm8RowMajorENS3_11ColumnMajorES4_dddddNS_16tensor_operation12element_wise11PassThroughES8_S8_LNS6_6device18GemmSpecializationE0ELi128ELi64ELi64ELi64ELi4ELi4ELi16ELi16ELi2ELi4ENS_8SequenceIJLi4ELi32ELi1EEEENSB_IJLi1ELi0ELi2EEEESD_Li2ELi2ELi2ELb0ELi0ESC_SD_SD_Li2ELi2ELi2ELb0ELi0ELi1ELi2ENSB_IJLi1ELi32ELi1ELi4EEEELi2ELNS_26BlockGemmPipelineSchedulerE0ELNS_24BlockGemmPipelineVersionE2EddLb0ELb0ELb0ELi0ELb0EEELb1ELNS_25InMemoryDataOperationEnumE1ELi2ELNS_10TailNumberE10EEEvNT_8ArgumentE
    .private_segment_fixed_size: 804
    .sgpr_count:     36
    .sgpr_spill_count: 0
    .symbol:         _ZN2ck27kernel_gemm_xdl_cshuffle_v3INS_28GridwiseGemm_xdl_cshuffle_v3INS_13tensor_layout4gemm8RowMajorENS3_11ColumnMajorES4_dddddNS_16tensor_operation12element_wise11PassThroughES8_S8_LNS6_6device18GemmSpecializationE0ELi128ELi64ELi64ELi64ELi4ELi4ELi16ELi16ELi2ELi4ENS_8SequenceIJLi4ELi32ELi1EEEENSB_IJLi1ELi0ELi2EEEESD_Li2ELi2ELi2ELb0ELi0ESC_SD_SD_Li2ELi2ELi2ELb0ELi0ELi1ELi2ENSB_IJLi1ELi32ELi1ELi4EEEELi2ELNS_26BlockGemmPipelineSchedulerE0ELNS_24BlockGemmPipelineVersionE2EddLb0ELb0ELb0ELi0ELb0EEELb1ELNS_25InMemoryDataOperationEnumE1ELi2ELNS_10TailNumberE10EEEvNT_8ArgumentE.kd
    .uniform_work_group_size: 1
    .uses_dynamic_stack: false
    .vgpr_count:     256
    .vgpr_spill_count: 360
    .wavefront_size: 64
  - .agpr_count:     0
    .args:
      - .offset:         0
        .size:           112
        .value_kind:     by_value
    .group_segment_fixed_size: 65536
    .kernarg_segment_align: 8
    .kernarg_segment_size: 112
    .language:       OpenCL C
    .language_version:
      - 2
      - 0
    .max_flat_workgroup_size: 128
    .name:           _ZN2ck27kernel_gemm_xdl_cshuffle_v3INS_28GridwiseGemm_xdl_cshuffle_v3INS_13tensor_layout4gemm8RowMajorENS3_11ColumnMajorES4_dddddNS_16tensor_operation12element_wise11PassThroughES8_S8_LNS6_6device18GemmSpecializationE0ELi128ELi64ELi64ELi64ELi4ELi4ELi16ELi16ELi2ELi4ENS_8SequenceIJLi4ELi32ELi1EEEENSB_IJLi1ELi0ELi2EEEESD_Li2ELi2ELi2ELb0ELi0ESC_SD_SD_Li2ELi2ELi2ELb0ELi0ELi1ELi2ENSB_IJLi1ELi32ELi1ELi4EEEELi2ELNS_26BlockGemmPipelineSchedulerE0ELNS_24BlockGemmPipelineVersionE2EddLb0ELb0ELb0ELi0ELb0EEELb1ELNS_25InMemoryDataOperationEnumE0ELi2ELNS_10TailNumberE10EEEvNT_8ArgumentE
    .private_segment_fixed_size: 788
    .sgpr_count:     36
    .sgpr_spill_count: 0
    .symbol:         _ZN2ck27kernel_gemm_xdl_cshuffle_v3INS_28GridwiseGemm_xdl_cshuffle_v3INS_13tensor_layout4gemm8RowMajorENS3_11ColumnMajorES4_dddddNS_16tensor_operation12element_wise11PassThroughES8_S8_LNS6_6device18GemmSpecializationE0ELi128ELi64ELi64ELi64ELi4ELi4ELi16ELi16ELi2ELi4ENS_8SequenceIJLi4ELi32ELi1EEEENSB_IJLi1ELi0ELi2EEEESD_Li2ELi2ELi2ELb0ELi0ESC_SD_SD_Li2ELi2ELi2ELb0ELi0ELi1ELi2ENSB_IJLi1ELi32ELi1ELi4EEEELi2ELNS_26BlockGemmPipelineSchedulerE0ELNS_24BlockGemmPipelineVersionE2EddLb0ELb0ELb0ELi0ELb0EEELb1ELNS_25InMemoryDataOperationEnumE0ELi2ELNS_10TailNumberE10EEEvNT_8ArgumentE.kd
    .uniform_work_group_size: 1
    .uses_dynamic_stack: false
    .vgpr_count:     256
    .vgpr_spill_count: 344
    .wavefront_size: 64
  - .agpr_count:     0
    .args:
      - .offset:         0
        .size:           112
        .value_kind:     by_value
    .group_segment_fixed_size: 0
    .kernarg_segment_align: 8
    .kernarg_segment_size: 112
    .language:       OpenCL C
    .language_version:
      - 2
      - 0
    .max_flat_workgroup_size: 128
    .name:           _ZN2ck27kernel_gemm_xdl_cshuffle_v3INS_28GridwiseGemm_xdl_cshuffle_v3INS_13tensor_layout4gemm8RowMajorENS3_11ColumnMajorES4_dddddNS_16tensor_operation12element_wise11PassThroughES8_S8_LNS6_6device18GemmSpecializationE0ELi128ELi64ELi64ELi64ELi4ELi4ELi16ELi16ELi2ELi2ENS_8SequenceIJLi4ELi32ELi1EEEENSB_IJLi1ELi0ELi2EEEESD_Li2ELi2ELi2ELb0ELi0ESC_SD_SD_Li2ELi2ELi2ELb0ELi0ELi1ELi2ENSB_IJLi1ELi32ELi1ELi4EEEELi2ELNS_26BlockGemmPipelineSchedulerE0ELNS_24BlockGemmPipelineVersionE2EddLb0ELb0ELb0ELi0ELb0EEELb1ELNS_25InMemoryDataOperationEnumE1ELi2ELNS_10TailNumberE10EEEvNT_8ArgumentE
    .private_segment_fixed_size: 0
    .sgpr_count:     4
    .sgpr_spill_count: 0
    .symbol:         _ZN2ck27kernel_gemm_xdl_cshuffle_v3INS_28GridwiseGemm_xdl_cshuffle_v3INS_13tensor_layout4gemm8RowMajorENS3_11ColumnMajorES4_dddddNS_16tensor_operation12element_wise11PassThroughES8_S8_LNS6_6device18GemmSpecializationE0ELi128ELi64ELi64ELi64ELi4ELi4ELi16ELi16ELi2ELi2ENS_8SequenceIJLi4ELi32ELi1EEEENSB_IJLi1ELi0ELi2EEEESD_Li2ELi2ELi2ELb0ELi0ESC_SD_SD_Li2ELi2ELi2ELb0ELi0ELi1ELi2ENSB_IJLi1ELi32ELi1ELi4EEEELi2ELNS_26BlockGemmPipelineSchedulerE0ELNS_24BlockGemmPipelineVersionE2EddLb0ELb0ELb0ELi0ELb0EEELb1ELNS_25InMemoryDataOperationEnumE1ELi2ELNS_10TailNumberE10EEEvNT_8ArgumentE.kd
    .uniform_work_group_size: 1
    .uses_dynamic_stack: false
    .vgpr_count:     0
    .vgpr_spill_count: 0
    .wavefront_size: 64
  - .agpr_count:     0
    .args:
      - .offset:         0
        .size:           112
        .value_kind:     by_value
    .group_segment_fixed_size: 0
    .kernarg_segment_align: 8
    .kernarg_segment_size: 112
    .language:       OpenCL C
    .language_version:
      - 2
      - 0
    .max_flat_workgroup_size: 128
    .name:           _ZN2ck27kernel_gemm_xdl_cshuffle_v3INS_28GridwiseGemm_xdl_cshuffle_v3INS_13tensor_layout4gemm8RowMajorENS3_11ColumnMajorES4_dddddNS_16tensor_operation12element_wise11PassThroughES8_S8_LNS6_6device18GemmSpecializationE0ELi128ELi64ELi64ELi64ELi4ELi4ELi16ELi16ELi2ELi2ENS_8SequenceIJLi4ELi32ELi1EEEENSB_IJLi1ELi0ELi2EEEESD_Li2ELi2ELi2ELb0ELi0ESC_SD_SD_Li2ELi2ELi2ELb0ELi0ELi1ELi2ENSB_IJLi1ELi32ELi1ELi4EEEELi2ELNS_26BlockGemmPipelineSchedulerE0ELNS_24BlockGemmPipelineVersionE2EddLb0ELb0ELb0ELi0ELb0EEELb1ELNS_25InMemoryDataOperationEnumE0ELi2ELNS_10TailNumberE10EEEvNT_8ArgumentE
    .private_segment_fixed_size: 0
    .sgpr_count:     4
    .sgpr_spill_count: 0
    .symbol:         _ZN2ck27kernel_gemm_xdl_cshuffle_v3INS_28GridwiseGemm_xdl_cshuffle_v3INS_13tensor_layout4gemm8RowMajorENS3_11ColumnMajorES4_dddddNS_16tensor_operation12element_wise11PassThroughES8_S8_LNS6_6device18GemmSpecializationE0ELi128ELi64ELi64ELi64ELi4ELi4ELi16ELi16ELi2ELi2ENS_8SequenceIJLi4ELi32ELi1EEEENSB_IJLi1ELi0ELi2EEEESD_Li2ELi2ELi2ELb0ELi0ESC_SD_SD_Li2ELi2ELi2ELb0ELi0ELi1ELi2ENSB_IJLi1ELi32ELi1ELi4EEEELi2ELNS_26BlockGemmPipelineSchedulerE0ELNS_24BlockGemmPipelineVersionE2EddLb0ELb0ELb0ELi0ELb0EEELb1ELNS_25InMemoryDataOperationEnumE0ELi2ELNS_10TailNumberE10EEEvNT_8ArgumentE.kd
    .uniform_work_group_size: 1
    .uses_dynamic_stack: false
    .vgpr_count:     0
    .vgpr_spill_count: 0
    .wavefront_size: 64
amdhsa.target:   amdgcn-amd-amdhsa--gfx90a
amdhsa.version:
  - 1
  - 2
...

	.end_amdgpu_metadata
